;; amdgpu-corpus repo=ROCm/rocFFT kind=compiled arch=gfx1201 opt=O3
	.text
	.amdgcn_target "amdgcn-amd-amdhsa--gfx1201"
	.amdhsa_code_object_version 6
	.protected	bluestein_single_fwd_len676_dim1_half_op_CI_CI ; -- Begin function bluestein_single_fwd_len676_dim1_half_op_CI_CI
	.globl	bluestein_single_fwd_len676_dim1_half_op_CI_CI
	.p2align	8
	.type	bluestein_single_fwd_len676_dim1_half_op_CI_CI,@function
bluestein_single_fwd_len676_dim1_half_op_CI_CI: ; @bluestein_single_fwd_len676_dim1_half_op_CI_CI
; %bb.0:
	s_load_b128 s[16:19], s[0:1], 0x28
	v_mul_u32_u24_e32 v1, 0x4ed, v0
	s_mov_b32 s2, exec_lo
	v_mov_b32_e32 v25, 0
	s_delay_alu instid0(VALU_DEP_2) | instskip(NEXT) | instid1(VALU_DEP_1)
	v_lshrrev_b32_e32 v1, 16, v1
	v_add_nc_u32_e32 v24, ttmp9, v1
	s_wait_kmcnt 0x0
	s_delay_alu instid0(VALU_DEP_1)
	v_cmpx_gt_u64_e64 s[16:17], v[24:25]
	s_cbranch_execz .LBB0_10
; %bb.1:
	s_clause 0x1
	s_load_b128 s[4:7], s[0:1], 0x18
	s_load_b128 s[8:11], s[0:1], 0x0
	v_mul_lo_u16 v1, v1, 52
	s_delay_alu instid0(VALU_DEP_1) | instskip(NEXT) | instid1(VALU_DEP_1)
	v_sub_nc_u16 v14, v0, v1
	v_and_b32_e32 v63, 0xffff, v14
	s_delay_alu instid0(VALU_DEP_1)
	v_lshlrev_b32_e32 v43, 2, v63
	s_wait_kmcnt 0x0
	s_load_b128 s[12:15], s[4:5], 0x0
	s_clause 0x7
	global_load_b32 v66, v43, s[8:9]
	global_load_b32 v67, v43, s[8:9] offset:208
	global_load_b32 v65, v43, s[8:9] offset:416
	;; [unrolled: 1-line block ×7, first 2 shown]
	v_add_nc_u32_e32 v15, 0x800, v43
	v_add_nc_u32_e32 v72, 0x200, v43
	;; [unrolled: 1-line block ×3, first 2 shown]
	s_wait_kmcnt 0x0
	v_mad_co_u64_u32 v[0:1], null, s14, v24, 0
	v_mad_co_u64_u32 v[2:3], null, s12, v63, 0
	s_mul_u64 s[2:3], s[12:13], 0xd0
	s_delay_alu instid0(VALU_DEP_1) | instskip(NEXT) | instid1(VALU_DEP_1)
	v_mad_co_u64_u32 v[4:5], null, s15, v24, v[1:2]
	v_mad_co_u64_u32 v[5:6], null, s13, v63, v[3:4]
	v_mov_b32_e32 v1, v4
	s_delay_alu instid0(VALU_DEP_1) | instskip(NEXT) | instid1(VALU_DEP_3)
	v_lshlrev_b64_e32 v[0:1], 2, v[0:1]
	v_mov_b32_e32 v3, v5
	s_delay_alu instid0(VALU_DEP_2) | instskip(NEXT) | instid1(VALU_DEP_2)
	v_add_co_u32 v0, vcc_lo, s18, v0
	v_lshlrev_b64_e32 v[2:3], 2, v[2:3]
	s_delay_alu instid0(VALU_DEP_4) | instskip(NEXT) | instid1(VALU_DEP_2)
	v_add_co_ci_u32_e32 v1, vcc_lo, s19, v1, vcc_lo
	v_add_co_u32 v0, vcc_lo, v0, v2
	s_wait_alu 0xfffd
	s_delay_alu instid0(VALU_DEP_2)
	v_add_co_ci_u32_e32 v1, vcc_lo, v1, v3, vcc_lo
	global_load_b32 v4, v[0:1], off
	v_add_co_u32 v0, vcc_lo, v0, s2
	s_wait_alu 0xfffd
	v_add_co_ci_u32_e32 v1, vcc_lo, s3, v1, vcc_lo
	s_clause 0x4
	global_load_b32 v52, v43, s[8:9] offset:1664
	global_load_b32 v50, v43, s[8:9] offset:1872
	;; [unrolled: 1-line block ×5, first 2 shown]
	v_add_co_u32 v2, vcc_lo, v0, s2
	s_wait_alu 0xfffd
	v_add_co_ci_u32_e32 v3, vcc_lo, s3, v1, vcc_lo
	global_load_b32 v5, v[0:1], off
	v_add_co_u32 v0, vcc_lo, v2, s2
	s_wait_alu 0xfffd
	v_add_co_ci_u32_e32 v1, vcc_lo, s3, v3, vcc_lo
	s_clause 0x1
	global_load_b32 v6, v[2:3], off
	global_load_b32 v7, v[0:1], off
	v_add_co_u32 v0, vcc_lo, v0, s2
	s_wait_alu 0xfffd
	v_add_co_ci_u32_e32 v1, vcc_lo, s3, v1, vcc_lo
	s_delay_alu instid0(VALU_DEP_2) | instskip(SKIP_1) | instid1(VALU_DEP_2)
	v_add_co_u32 v2, vcc_lo, v0, s2
	s_wait_alu 0xfffd
	v_add_co_ci_u32_e32 v3, vcc_lo, s3, v1, vcc_lo
	global_load_b32 v8, v[0:1], off
	v_add_co_u32 v0, vcc_lo, v2, s2
	s_wait_alu 0xfffd
	v_add_co_ci_u32_e32 v1, vcc_lo, s3, v3, vcc_lo
	global_load_b32 v9, v[2:3], off
	global_load_b32 v10, v[0:1], off
	v_add_co_u32 v0, vcc_lo, v0, s2
	s_wait_alu 0xfffd
	v_add_co_ci_u32_e32 v1, vcc_lo, s3, v1, vcc_lo
	s_delay_alu instid0(VALU_DEP_2) | instskip(SKIP_1) | instid1(VALU_DEP_2)
	v_add_co_u32 v2, vcc_lo, v0, s2
	s_wait_alu 0xfffd
	v_add_co_ci_u32_e32 v3, vcc_lo, s3, v1, vcc_lo
	global_load_b32 v11, v[0:1], off
	v_add_co_u32 v0, vcc_lo, v2, s2
	s_wait_alu 0xfffd
	v_add_co_ci_u32_e32 v1, vcc_lo, s3, v3, vcc_lo
	global_load_b32 v12, v[2:3], off
	;; [unrolled: 4-line block ×5, first 2 shown]
	global_load_b32 v1, v[2:3], off
	s_load_b128 s[4:7], s[6:7], 0x0
	s_load_b64 s[2:3], s[0:1], 0x38
	v_cmp_gt_u16_e32 vcc_lo, 13, v14
	s_wait_loadcnt 0x19
	v_lshrrev_b32_e32 v70, 16, v66
	s_wait_loadcnt 0x18
	v_lshrrev_b32_e32 v69, 16, v67
	;; [unrolled: 2-line block ×9, first 2 shown]
	v_mul_f16_e32 v3, v70, v4
	s_wait_loadcnt 0x10
	v_lshrrev_b32_e32 v53, 16, v52
	s_wait_loadcnt 0xf
	v_lshrrev_b32_e32 v51, 16, v50
	;; [unrolled: 2-line block ×3, first 2 shown]
	v_mul_f16_e32 v18, v70, v2
	v_fma_f16 v2, v66, v2, -v3
	s_wait_loadcnt 0xd
	v_lshrrev_b32_e32 v47, 16, v46
	s_wait_loadcnt 0xc
	v_lshrrev_b32_e32 v45, 16, v44
	;; [unrolled: 2-line block ×3, first 2 shown]
	v_mul_f16_e32 v20, v69, v5
	v_fmac_f16_e32 v18, v66, v4
	s_delay_alu instid0(VALU_DEP_3)
	v_mul_f16_e32 v3, v69, v19
	s_wait_loadcnt 0xa
	v_lshrrev_b32_e32 v4, 16, v6
	v_fma_f16 v19, v67, v19, -v20
	v_mul_f16_e32 v20, v68, v6
	v_pack_b32_f16 v2, v18, v2
	v_fmac_f16_e32 v3, v67, v5
	v_mul_f16_e32 v5, v68, v4
	s_wait_loadcnt 0x9
	v_lshrrev_b32_e32 v18, 16, v7
	v_mul_f16_e32 v21, v64, v7
	v_fma_f16 v4, v65, v4, -v20
	v_pack_b32_f16 v3, v3, v19
	v_fmac_f16_e32 v5, v65, v6
	v_mul_f16_e32 v6, v64, v18
	s_wait_loadcnt 0x8
	v_lshrrev_b32_e32 v19, 16, v8
	v_fma_f16 v18, v61, v18, -v21
	v_mul_f16_e32 v20, v62, v8
	ds_store_2addr_b32 v43, v2, v3 offset1:52
	v_pack_b32_f16 v2, v5, v4
	v_fmac_f16_e32 v6, v61, v7
	v_mul_f16_e32 v3, v62, v19
	s_wait_loadcnt 0x7
	v_lshrrev_b32_e32 v4, 16, v9
	v_mul_f16_e32 v5, v60, v9
	v_fma_f16 v7, v59, v19, -v20
	v_pack_b32_f16 v6, v6, v18
	v_fmac_f16_e32 v3, v59, v8
	v_mul_f16_e32 v8, v60, v4
	v_fma_f16 v4, v58, v4, -v5
	s_wait_loadcnt 0x6
	v_lshrrev_b32_e32 v5, 16, v10
	v_mul_f16_e32 v18, v57, v10
	ds_store_2addr_b32 v43, v2, v6 offset0:104 offset1:156
	v_pack_b32_f16 v2, v3, v7
	v_fmac_f16_e32 v8, v58, v9
	v_mul_f16_e32 v3, v57, v5
	s_wait_loadcnt 0x5
	v_lshrrev_b32_e32 v6, 16, v11
	v_mul_f16_e32 v7, v56, v11
	v_fma_f16 v5, v55, v5, -v18
	v_pack_b32_f16 v4, v8, v4
	v_fmac_f16_e32 v3, v55, v10
	v_mul_f16_e32 v8, v56, v6
	v_fma_f16 v6, v54, v6, -v7
	s_wait_loadcnt 0x4
	v_lshrrev_b32_e32 v7, 16, v12
	v_mul_f16_e32 v9, v53, v12
	v_pack_b32_f16 v3, v3, v5
	v_fmac_f16_e32 v8, v54, v11
	s_wait_loadcnt 0x3
	v_lshrrev_b32_e32 v5, 16, v13
	v_mul_f16_e32 v10, v53, v7
	v_fma_f16 v7, v52, v7, -v9
	v_mul_f16_e32 v9, v51, v13
	v_pack_b32_f16 v6, v8, v6
	v_mul_f16_e32 v8, v51, v5
	v_fmac_f16_e32 v10, v52, v12
	s_wait_loadcnt 0x2
	v_lshrrev_b32_e32 v11, 16, v17
	v_fma_f16 v5, v50, v5, -v9
	v_mul_f16_e32 v9, v49, v17
	s_wait_loadcnt 0x1
	v_lshrrev_b32_e32 v12, 16, v0
	s_wait_loadcnt 0x0
	v_lshrrev_b32_e32 v18, 16, v1
	v_fmac_f16_e32 v8, v50, v13
	v_mul_f16_e32 v13, v49, v11
	v_fma_f16 v9, v48, v11, -v9
	v_mul_f16_e32 v11, v47, v0
	v_mul_f16_e32 v19, v47, v12
	;; [unrolled: 1-line block ×4, first 2 shown]
	v_fmac_f16_e32 v13, v48, v17
	v_fma_f16 v11, v46, v12, -v11
	v_fmac_f16_e32 v19, v46, v0
	v_fma_f16 v0, v44, v18, -v20
	v_fmac_f16_e32 v21, v44, v1
	v_pack_b32_f16 v1, v10, v7
	v_pack_b32_f16 v5, v8, v5
	;; [unrolled: 1-line block ×5, first 2 shown]
	ds_store_2addr_b32 v72, v2, v4 offset0:80 offset1:132
	ds_store_2addr_b32 v16, v3, v6 offset0:56 offset1:108
	ds_store_2addr_b32 v16, v1, v5 offset0:160 offset1:212
	ds_store_2addr_b32 v15, v7, v8 offset0:8 offset1:60
	ds_store_b32 v43, v0 offset:2496
	global_wb scope:SCOPE_SE
	s_wait_dscnt 0x0
	s_wait_kmcnt 0x0
	s_barrier_signal -1
	s_barrier_wait -1
	global_inv scope:SCOPE_SE
	ds_load_2addr_b32 v[2:3], v43 offset1:52
	ds_load_b32 v6, v43 offset:2496
	ds_load_2addr_b32 v[4:5], v43 offset0:104 offset1:156
	ds_load_2addr_b32 v[0:1], v15 offset0:8 offset1:60
	v_mul_lo_u16 v11, v14, 13
	ds_load_2addr_b32 v[7:8], v72 offset0:80 offset1:132
	ds_load_2addr_b32 v[9:10], v16 offset0:160 offset1:212
	v_and_b32_e32 v13, 0xffff, v11
	ds_load_2addr_b32 v[11:12], v16 offset0:56 offset1:108
	global_wb scope:SCOPE_SE
	s_wait_dscnt 0x0
	s_barrier_signal -1
	s_barrier_wait -1
	v_lshlrev_b32_e32 v71, 2, v13
	global_inv scope:SCOPE_SE
	v_pk_add_f16 v13, v2, v3
	v_pk_add_f16 v17, v6, v3
	v_pk_add_f16 v3, v3, v6 neg_lo:[0,1] neg_hi:[0,1]
	v_pk_add_f16 v19, v1, v4
	v_pk_add_f16 v20, v4, v1 neg_lo:[0,1] neg_hi:[0,1]
	v_pk_add_f16 v4, v13, v4
	v_pk_add_f16 v21, v0, v5
	v_pk_add_f16 v22, v5, v0 neg_lo:[0,1] neg_hi:[0,1]
	v_pk_add_f16 v23, v10, v7
	v_pk_add_f16 v25, v7, v10 neg_lo:[0,1] neg_hi:[0,1]
	v_pk_add_f16 v26, v9, v8
	v_pk_add_f16 v27, v8, v9 neg_lo:[0,1] neg_hi:[0,1]
	v_lshrrev_b32_e32 v13, 16, v3
	v_pk_mul_f16 v30, 0x3b15388b, v17
	v_pk_add_f16 v4, v4, v5
	v_lshrrev_b32_e32 v31, 16, v17
	v_mul_f16_e32 v32, 0xba95, v3
	v_mul_f16_e32 v33, 0xbbf1, v3
	v_mul_f16_e32 v34, 0xbb7b, v3
	v_mul_f16_e32 v35, 0xb94e, v3
	v_lshrrev_b32_e32 v36, 16, v19
	v_mul_f16_e32 v37, 0xbb7b, v20
	v_mul_f16_e32 v38, 0xb3a8, v20
	v_mul_f16_e32 v39, 0x394e, v20
	v_mul_f16_e32 v40, 0x3bf1, v20
	;; [unrolled: 5-line block ×3, first 2 shown]
	v_lshrrev_b32_e32 v76, 16, v23
	v_mul_f16_e32 v77, 0x394e, v25
	v_mul_f16_e32 v78, 0x3770, v25
	v_pk_mul_f16 v79, 0xbbc4, v17 op_sel_hi:[0,1]
	v_mul_f16_e32 v80, 0xbbf1, v25
	v_mul_f16_e32 v81, 0x33a8, v25
	v_lshrrev_b32_e32 v82, 16, v26
	v_mul_f16_e32 v83, 0x3bf1, v27
	v_mul_f16_e32 v84, 0xba95, v27
	;; [unrolled: 1-line block ×4, first 2 shown]
	v_pk_mul_f16 v87, 0x388bb5ac, v19
	v_pk_mul_f16 v88, 0x3b15, v19 op_sel_hi:[0,1]
	v_lshrrev_b32_e32 v89, 16, v20
	v_pk_mul_f16 v90, 0x2fb7bbc4, v21
	v_pk_mul_f16 v91, 0xb9fd, v21 op_sel_hi:[0,1]
	v_lshrrev_b32_e32 v92, 16, v22
	v_mul_f16_e32 v5, 0xb770, v13
	v_pk_fma_f16 v106, 0xba95b770, v3, v30 op_sel:[0,0,1] op_sel_hi:[1,1,0] neg_lo:[0,1,0] neg_hi:[0,1,0]
	v_pk_fma_f16 v30, 0xba95b770, v3, v30 op_sel:[0,0,1] op_sel_hi:[1,1,0]
	v_mul_f16_e32 v108, 0xbbf1, v13
	v_mul_f16_e32 v110, 0xbb7b, v13
	;; [unrolled: 1-line block ×3, first 2 shown]
	v_pk_add_f16 v4, v4, v7
	v_lshrrev_b32_e32 v18, 16, v2
	v_fmamk_f16 v107, v31, 0x388b, v32
	v_fma_f16 v32, v31, 0x388b, -v32
	v_fmamk_f16 v109, v31, 0x2fb7, v33
	v_fma_f16 v33, v31, 0x2fb7, -v33
	;; [unrolled: 2-line block ×10, first 2 shown]
	v_pk_fma_f16 v117, 0xb3a8, v3, v79 op_sel:[0,0,1] op_sel_hi:[0,1,0] neg_lo:[0,1,0] neg_hi:[0,1,0]
	v_pk_fma_f16 v3, 0xb3a8, v3, v79 op_sel:[0,0,1] op_sel_hi:[0,1,0]
	v_fmamk_f16 v79, v41, 0x3b15, v74
	v_fma_f16 v74, v41, 0x3b15, -v74
	v_fmamk_f16 v118, v41, 0x388b, v75
	v_fma_f16 v41, v41, 0x388b, -v75
	;; [unrolled: 2-line block ×10, first 2 shown]
	v_pk_fma_f16 v86, 0xbb7bba95, v20, v87 op_sel:[0,0,1] op_sel_hi:[1,1,0] neg_lo:[0,1,0] neg_hi:[0,1,0]
	v_pk_fma_f16 v87, 0xbb7bba95, v20, v87 op_sel:[0,0,1] op_sel_hi:[1,1,0]
	v_pk_fma_f16 v125, 0x3770, v20, v88 op_sel:[0,0,1] op_sel_hi:[0,1,0] neg_lo:[0,1,0] neg_hi:[0,1,0]
	v_pk_fma_f16 v20, 0x3770, v20, v88 op_sel:[0,0,1] op_sel_hi:[0,1,0]
	v_mul_f16_e32 v88, 0xba95, v89
	v_mul_f16_e32 v126, 0xb3a8, v89
	;; [unrolled: 1-line block ×4, first 2 shown]
	v_pk_fma_f16 v128, 0xb3a8bbf1, v22, v90 op_sel:[0,0,1] op_sel_hi:[1,1,0] neg_lo:[0,1,0] neg_hi:[0,1,0]
	v_pk_fma_f16 v90, 0xb3a8bbf1, v22, v90 op_sel:[0,0,1] op_sel_hi:[1,1,0]
	v_pk_fma_f16 v129, 0xb94e, v22, v91 op_sel:[0,0,1] op_sel_hi:[0,1,0] neg_lo:[0,1,0] neg_hi:[0,1,0]
	v_pk_fma_f16 v22, 0xb94e, v22, v91 op_sel:[0,0,1] op_sel_hi:[0,1,0]
	v_mul_f16_e32 v91, 0xbbf1, v92
	v_mul_f16_e64 v130, 0x3b7b, v92
	v_mul_f16_e64 v131, 0x3770, v92
	v_mul_f16_e32 v92, 0xba95, v92
	v_fma_f16 v7, v17, 0x3b15, -v5
	v_fmac_f16_e32 v5, 0x3b15, v17
	v_fma_f16 v149, v17, 0x2fb7, -v108
	v_fmac_f16_e32 v108, 0x2fb7, v17
	v_fma_f16 v150, v17, 0xb5ac, -v110
	v_fmac_f16_e32 v110, 0xb5ac, v17
	v_fma_f16 v151, v17, 0xb9fd, -v13
	v_fmac_f16_e32 v13, 0xb9fd, v17
	v_bfi_b32 v17, 0xffff, v30, v106
	v_pk_add_f16 v4, v4, v8
	v_lshrrev_b32_e32 v93, 16, v25
	v_pk_mul_f16 v94, 0xb5acb9fd, v23
	v_fma_f16 v152, v19, 0x388b, -v88
	v_fmac_f16_e32 v88, 0x388b, v19
	v_fma_f16 v153, v19, 0xbbc4, -v126
	v_fmac_f16_e32 v126, 0xbbc4, v19
	;; [unrolled: 2-line block ×5, first 2 shown]
	v_fma_f16 v156, v21, 0xb5ac, -v130
	v_fmac_f16_e64 v130, 0xb5ac, v21
	v_fma_f16 v157, v21, 0x3b15, -v131
	v_fmac_f16_e64 v131, 0x3b15, v21
	v_fma_f16 v158, v21, 0x388b, -v92
	v_fmac_f16_e32 v92, 0x388b, v21
	v_add_f16_e32 v21, v18, v107
	v_add_f16_e32 v32, v18, v32
	;; [unrolled: 1-line block ×9, first 2 shown]
	v_bfi_b32 v106, 0xffff, v87, v86
	v_add_f16_e32 v7, v2, v7
	v_pk_add_f16 v8, v2, v17 op_sel:[1,0] op_sel_hi:[0,1]
	v_pk_add_f16 v4, v4, v11
	v_pk_add_f16 v28, v12, v11
	v_pk_add_f16 v29, v11, v12 neg_lo:[0,1] neg_hi:[0,1]
	v_lshrrev_b32_e32 v95, 16, v27
	v_pk_mul_f16 v96, 0xb9fd2fb7, v26
	v_mul_f16_e64 v132, 0xbb7b, v93
	v_pk_fma_f16 v133, 0x394ebb7b, v25, v94 op_sel:[0,0,1] op_sel_hi:[1,1,0] neg_lo:[0,1,0] neg_hi:[0,1,0]
	v_pk_fma_f16 v94, 0x394ebb7b, v25, v94 op_sel:[0,0,1] op_sel_hi:[1,1,0]
	v_pk_add_f16 v30, v2, v30 op_sel:[1,0] op_sel_hi:[0,1]
	v_pk_add_f16 v117, v2, v117 op_sel:[1,0] op_sel_hi:[0,1]
	;; [unrolled: 1-line block ×3, first 2 shown]
	v_bfi_b32 v112, 0xffff, v90, v128
	v_add_f16_e32 v5, v2, v5
	v_add_f16_e64 v17, v2, v149
	v_add_f16_e32 v108, v2, v108
	v_add_f16_e64 v149, v2, v150
	;; [unrolled: 2-line block ×3, first 2 shown]
	v_add_f16_e32 v2, v2, v13
	v_add_f16_e32 v13, v35, v21
	v_add_f16_e64 v7, v152, v7
	v_pk_add_f16 v8, v106, v8
	v_pk_add_f16 v4, v4, v12
	v_lshrrev_b32_e32 v97, 16, v29
	v_pk_mul_f16 v98, 0xbbc43b15, v28
	v_mul_f16_e64 v134, 0x3770, v93
	v_mul_f16_e64 v135, 0xbbf1, v93
	v_mul_f16_e32 v93, 0x33a8, v93
	v_mul_f16_e64 v136, 0xb94e, v95
	v_pk_fma_f16 v137, 0x3bf1b94e, v27, v96 op_sel:[0,0,1] op_sel_hi:[1,1,0] neg_lo:[0,1,0] neg_hi:[0,1,0]
	v_pk_fma_f16 v96, 0x3bf1b94e, v27, v96 op_sel:[0,0,1] op_sel_hi:[1,1,0]
	v_fma_f16 v159, v23, 0xb5ac, -v132
	v_bfi_b32 v160, 0xffff, v94, v133
	v_add_f16_e32 v21, v37, v32
	v_add_f16_e32 v32, v113, v107
	v_add_f16_e32 v33, v38, v33
	v_add_f16_e32 v35, v114, v109
	v_add_f16_e32 v18, v86, v18
	v_pk_add_f16 v3, v20, v3
	v_add_f16_e64 v11, v153, v17
	v_add_f16_e32 v17, v126, v108
	v_add_f16_e64 v20, v154, v149
	v_add_f16_e32 v38, v127, v110
	v_add_f16_e32 v13, v40, v13
	;; [unrolled: 1-line block ×3, first 2 shown]
	v_pk_add_f16 v8, v112, v8
	v_pk_add_f16 v4, v4, v9
	v_lshrrev_b32_e32 v100, 16, v28
	v_mul_f16_e32 v101, 0x3770, v29
	v_mul_f16_e32 v103, 0x3a95, v29
	;; [unrolled: 1-line block ×3, first 2 shown]
	v_pk_mul_f16 v105, 0x388b, v23 op_sel_hi:[0,1]
	v_mul_f16_e64 v138, 0xba95, v95
	v_mul_f16_e64 v139, 0x33a8, v95
	;; [unrolled: 1-line block ×3, first 2 shown]
	v_pk_fma_f16 v141, 0x3770b3a8, v29, v98 op_sel:[0,0,1] op_sel_hi:[1,1,0] neg_lo:[0,1,0] neg_hi:[0,1,0]
	v_pk_fma_f16 v142, 0x3770b3a8, v29, v98 op_sel:[0,0,1] op_sel_hi:[1,1,0]
	v_fmac_f16_e64 v132, 0xb5ac, v23
	v_fma_f16 v161, v23, 0x3b15, -v134
	v_fmac_f16_e64 v134, 0x3b15, v23
	v_fma_f16 v162, v23, 0x2fb7, -v135
	;; [unrolled: 2-line block ×3, first 2 shown]
	v_fmac_f16_e32 v93, 0xbbc4, v23
	v_fma_f16 v23, v26, 0xb9fd, -v136
	v_bfi_b32 v164, 0xffff, v96, v137
	v_add_f16_e32 v34, v39, v34
	v_add_f16_e64 v39, v155, v150
	v_add_f16_e32 v21, v42, v21
	v_add_f16_e32 v32, v116, v32
	;; [unrolled: 1-line block ×4, first 2 shown]
	v_add_f16_e64 v18, v128, v18
	v_add_f16_e64 v11, v156, v11
	;; [unrolled: 1-line block ×5, first 2 shown]
	v_add_f16_e32 v13, v75, v13
	v_add_f16_e64 v7, v159, v7
	v_pk_add_f16 v8, v160, v8
	v_pk_add_f16 v4, v4, v10
	v_mul_f16_e32 v95, 0x3770, v95
	v_fma_f16 v143, 0x3b15, v100, v101
	v_fma_f16 v101, v100, 0x3b15, -v101
	v_mul_f16_e64 v144, 0xb94e, v97
	v_fma_f16 v145, 0x388b, v100, v103
	v_fma_f16 v103, v100, 0x388b, -v103
	v_fma_f16 v146, 0xb5ac, v100, v104
	v_fma_f16 v104, v100, 0xb5ac, -v104
	v_mul_f16_e32 v100, 0xb9fd, v100
	v_mul_f16_e64 v147, 0x3a95, v97
	v_fma_f16 v165, v26, 0x388b, -v138
	v_fmac_f16_e64 v138, 0x388b, v26
	v_fma_f16 v166, v26, 0xbbc4, -v139
	v_fmac_f16_e64 v139, 0xbbc4, v26
	v_fma_f16 v168, v28, 0xbbc4, -v140
	v_bfi_b32 v142, 0xffff, v142, v141
	v_add_f16_e32 v37, v115, v111
	v_pk_add_f16 v3, v22, v3
	v_add_f16_e64 v20, v158, v39
	v_add_f16_e32 v21, v77, v21
	v_add_f16_e32 v22, v119, v32
	;; [unrolled: 1-line block ×4, first 2 shown]
	v_add_f16_e64 v18, v133, v18
	v_add_f16_e64 v9, v161, v11
	;; [unrolled: 1-line block ×5, first 2 shown]
	v_add_f16_e32 v13, v81, v13
	v_add_f16_e32 v7, v23, v7
	v_pk_add_f16 v8, v164, v8
	v_pk_add_f16 v0, v4, v0
	v_fma_f16 v167, v26, 0x3b15, -v95
	v_fma_f16 v169, v28, 0xb9fd, -v144
	v_fma_f16 v170, 0xb94e, v29, v100
	v_fmac_f16_e64 v144, 0xb9fd, v28
	v_fma_f16 v171, v28, 0x388b, -v147
	v_fmac_f16_e64 v147, 0x388b, v28
	v_add_f16_e32 v34, v74, v34
	v_add_f16_e32 v37, v118, v37
	v_add_f16_e64 v19, v163, v20
	v_add_f16_e32 v20, v83, v21
	v_add_f16_e32 v21, v122, v22
	;; [unrolled: 1-line block ×3, first 2 shown]
	v_add_f16_e64 v18, v137, v18
	v_add_f16_e64 v9, v165, v9
	;; [unrolled: 1-line block ×7, first 2 shown]
	v_pk_add_f16 v7, v142, v8
	v_pk_add_f16 v0, v0, v1
	v_mul_f16_e32 v97, 0xbb7b, v97
	v_add_f16_e32 v31, v36, v31
	v_pk_add_f16 v30, v87, v30
	v_pk_add_f16 v36, v125, v117
	v_add_f16_e32 v34, v80, v34
	v_add_f16_e32 v35, v121, v37
	v_add_f16_e64 v17, v167, v19
	v_add_f16_e64 v19, v141, v18
	;; [unrolled: 1-line block ×8, first 2 shown]
	v_alignbit_b32 v12, v13, v7, 16
	v_pk_add_f16 v0, v0, v6
	v_pk_fma_f16 v6, 0x3a95, v25, v105 op_sel:[0,0,1] op_sel_hi:[0,1,0]
	v_pk_mul_f16 v13, 0xb5ac, v26 op_sel_hi:[0,1]
	v_pk_fma_f16 v148, 0x3a95, v25, v105 op_sel:[0,0,1] op_sel_hi:[0,1,0] neg_lo:[0,1,0] neg_hi:[0,1,0]
	v_fma_f16 v172, v28, 0xb5ac, -v97
	v_pk_add_f16 v30, v90, v30
	v_pk_add_f16 v36, v129, v36
	v_add_f16_e32 v33, v85, v34
	v_add_f16_e32 v34, v124, v35
	v_pack_b32_f16 v4, v4, v7
	v_pack_b32_f16 v7, v10, v21
	v_pk_add_f16 v3, v6, v3
	v_pk_fma_f16 v6, 0xbb7b, v27, v13 op_sel:[0,0,1] op_sel_hi:[0,1,0] neg_lo:[0,1,0] neg_hi:[0,1,0]
	v_pk_fma_f16 v13, 0xbb7b, v27, v13 op_sel:[0,0,1] op_sel_hi:[0,1,0]
	v_and_b32_e32 v21, 0xff, v14
	v_mul_f16_e32 v102, 0xb94e, v29
	v_pk_add_f16 v30, v94, v30
	v_add_f16_e64 v23, v146, v34
	v_add_f16_e64 v11, v172, v17
	v_pk_add_f16 v10, v148, v36
	v_pk_mul_f16 v17, 0x2fb7, v28 op_sel_hi:[0,1]
	v_pk_add_f16 v3, v13, v3
	v_mul_lo_u16 v13, 0x4f, v21
	v_add_f16_e32 v2, v89, v2
	v_pk_mul_f16 v99, 0x3770b3a8, v29
	v_add_f16_e32 v5, v88, v5
	v_pack_b32_f16 v11, v11, v23
	v_pk_add_f16 v6, v6, v10
	v_pk_fma_f16 v10, 0x3bf1, v29, v17 op_sel:[0,0,1] op_sel_hi:[0,1,0] neg_lo:[0,1,0] neg_hi:[0,1,0]
	v_bfi_b32 v21, 0xffff, v102, v30
	v_pk_fma_f16 v23, 0x3bf1, v29, v17 op_sel:[0,0,1] op_sel_hi:[0,1,0]
	v_lshrrev_b16 v17, 10, v13
	v_add_f16_e32 v31, v41, v31
	v_add_f16_e32 v2, v92, v2
	v_fmac_f16_e64 v136, 0xb9fd, v26
	v_fmac_f16_e32 v95, 0x3b15, v26
	v_add_f16_e32 v5, v91, v5
	v_pack_b32_f16 v25, v84, v98
	v_bfi_b32 v26, 0xffff, v32, v99
	v_pk_add_f16 v13, v100, v21 neg_lo:[0,1] neg_hi:[0,1]
	v_pk_add_f16 v21, v96, v30
	v_pk_add_f16 v6, v10, v6
	v_mul_lo_u16 v10, v17, 13
	v_add_f16_e32 v31, v76, v31
	v_add_f16_e32 v2, v93, v2
	v_add_f16_e64 v5, v132, v5
	v_pk_add_f16 v3, v23, v3
	v_pk_add_f16 v23, v25, v26
	v_bfi_b32 v13, 0xffff, v13, v21
	ds_store_2addr_b32 v71, v0, v11 offset1:5
	v_sub_nc_u16 v0, v14, v10
	v_fmac_f16_e32 v97, 0xb5ac, v28
	v_add_f16_e32 v31, v82, v31
	v_add_f16_e32 v2, v95, v2
	v_fmac_f16_e64 v140, 0xbbc4, v28
	v_add_f16_e64 v5, v136, v5
	v_pack_b32_f16 v8, v8, v18
	v_pk_add_f16 v11, v13, v23
	v_and_b32_e32 v18, 0xff, v0
	v_add_f16_e32 v22, v103, v33
	v_add_f16_e32 v31, v104, v31
	;; [unrolled: 1-line block ×4, first 2 shown]
	v_add_f16_e64 v5, v140, v5
	v_alignbit_b32 v10, v6, v3, 16
	v_alignbit_b32 v3, v3, v6, 16
	v_pack_b32_f16 v6, v9, v11
	v_mul_u32_u24_e32 v9, 12, v18
	v_pack_b32_f16 v1, v1, v22
	v_pack_b32_f16 v0, v2, v31
	v_alignbit_b32 v2, v20, v11, 16
	v_pack_b32_f16 v5, v5, v19
	ds_store_2addr_b32 v71, v4, v12 offset0:1 offset1:2
	ds_store_2addr_b32 v71, v8, v7 offset0:3 offset1:4
	;; [unrolled: 1-line block ×5, first 2 shown]
	ds_store_b32 v71, v5 offset:48
	v_lshlrev_b32_e32 v0, 2, v9
	global_wb scope:SCOPE_SE
	s_wait_dscnt 0x0
	s_barrier_signal -1
	s_barrier_wait -1
	global_inv scope:SCOPE_SE
	s_clause 0x2
	global_load_b128 v[8:11], v0, s[10:11]
	global_load_b128 v[4:7], v0, s[10:11] offset:16
	global_load_b128 v[0:3], v0, s[10:11] offset:32
	ds_load_2addr_b32 v[12:13], v43 offset1:52
	ds_load_2addr_b32 v[21:22], v43 offset0:104 offset1:156
	ds_load_2addr_b32 v[26:27], v72 offset0:80 offset1:132
	;; [unrolled: 1-line block ×5, first 2 shown]
	ds_load_b32 v34, v43 offset:2496
	v_and_b32_e32 v17, 0xffff, v17
	global_wb scope:SCOPE_SE
	s_wait_loadcnt_dscnt 0x0
	s_barrier_signal -1
	s_barrier_wait -1
	global_inv scope:SCOPE_SE
	v_mul_u32_u24_e32 v17, 0xa9, v17
	v_lshrrev_b32_e32 v42, 16, v13
	v_lshrrev_b32_e32 v85, 16, v21
	;; [unrolled: 1-line block ×18, first 2 shown]
	v_mul_f16_e32 v105, v13, v84
	v_lshrrev_b32_e32 v77, 16, v7
	v_mul_f16_e32 v96, v21, v83
	v_mul_f16_e32 v36, v26, v81
	v_lshrrev_b32_e32 v78, 16, v6
	v_fmac_f16_e32 v105, v42, v8
	v_lshrrev_b32_e32 v76, 16, v0
	v_lshrrev_b32_e32 v73, 16, v2
	v_mul_f16_e32 v37, v85, v83
	v_mul_f16_e32 v98, v22, v82
	;; [unrolled: 1-line block ×6, first 2 shown]
	v_fmac_f16_e32 v96, v85, v9
	v_fmac_f16_e32 v36, v87, v11
	v_add_f16_e32 v87, v35, v105
	v_mul_f16_e32 v97, v86, v82
	v_mul_f16_e32 v23, v27, v80
	;; [unrolled: 1-line block ×6, first 2 shown]
	v_fma_f16 v110, v21, v9, -v37
	v_fma_f16 v37, v26, v11, -v99
	;; [unrolled: 1-line block ×4, first 2 shown]
	v_fmac_f16_e32 v98, v86, v10
	v_fma_f16 v38, v13, v8, -v106
	v_add_f16_e32 v87, v87, v96
	v_lshrrev_b32_e32 v79, 16, v5
	v_mul_f16_e32 v20, v33, v78
	v_mul_f16_e32 v29, v41, v73
	v_fma_f16 v97, v22, v10, -v97
	v_fma_f16 v22, v33, v6, -v102
	v_fmac_f16_e32 v30, v92, v0
	v_fma_f16 v33, v41, v2, -v108
	v_add_f16_e32 v41, v12, v38
	v_add_f16_e32 v87, v87, v98
	v_lshrrev_b32_e32 v74, 16, v3
	v_mul_f16_e32 v101, v89, v79
	v_mul_f16_e32 v19, v32, v79
	;; [unrolled: 1-line block ×3, first 2 shown]
	v_fmac_f16_e32 v23, v88, v4
	v_fmac_f16_e32 v29, v94, v2
	v_sub_f16_e32 v94, v36, v30
	v_add_f16_e32 v100, v36, v30
	v_add_f16_e32 v41, v41, v110
	;; [unrolled: 1-line block ×3, first 2 shown]
	v_lshrrev_b32_e32 v75, 16, v1
	v_mul_f16_e32 v28, v34, v74
	v_mul_f16_e32 v109, v95, v74
	v_fma_f16 v21, v32, v5, -v101
	v_fma_f16 v32, v39, v0, -v104
	v_fmac_f16_e32 v19, v89, v5
	v_add_f16_e32 v41, v41, v97
	v_add_f16_e32 v36, v36, v23
	v_mul_f16_e32 v107, v93, v75
	v_fmac_f16_e32 v20, v90, v6
	v_fmac_f16_e32 v28, v95, v3
	v_fma_f16 v13, v34, v3, -v109
	v_add_f16_e32 v95, v37, v32
	v_sub_f16_e32 v99, v37, v32
	v_add_f16_e32 v37, v41, v37
	v_add_f16_e32 v36, v36, v19
	v_mul_f16_e32 v31, v40, v75
	v_fmac_f16_e32 v25, v91, v7
	v_fma_f16 v34, v40, v1, -v107
	v_sub_f16_e32 v39, v105, v28
	v_add_f16_e32 v40, v38, v13
	v_sub_f16_e32 v38, v38, v13
	v_add_f16_e32 v37, v37, v26
	v_add_f16_e32 v36, v36, v20
	v_fmac_f16_e32 v31, v93, v1
	v_add_f16_e32 v42, v105, v28
	v_sub_f16_e32 v85, v96, v29
	v_sub_f16_e32 v88, v110, v33
	v_mul_f16_e32 v101, 0xb770, v39
	v_mul_f16_e32 v102, 0xba95, v39
	;; [unrolled: 1-line block ×10, first 2 shown]
	v_add_f16_e32 v37, v37, v21
	v_add_f16_e32 v36, v36, v25
	;; [unrolled: 1-line block ×4, first 2 shown]
	v_sub_f16_e32 v90, v98, v31
	v_sub_f16_e32 v92, v97, v34
	v_mul_f16_e32 v111, 0xb94e, v38
	v_mul_f16_e32 v38, 0xb3a8, v38
	;; [unrolled: 1-line block ×12, first 2 shown]
	v_fma_f16 v140, v40, 0x3b15, -v101
	v_fmac_f16_e32 v101, 0x3b15, v40
	v_fma_f16 v141, v40, 0x388b, -v102
	v_fmac_f16_e32 v102, 0x388b, v40
	;; [unrolled: 2-line block ×6, first 2 shown]
	v_fmamk_f16 v40, v42, 0x3b15, v106
	v_fma_f16 v106, v42, 0x3b15, -v106
	v_fma_f16 v146, 0x388b, v42, v107
	v_fma_f16 v107, v42, 0x388b, -v107
	v_fma_f16 v147, 0x2fb7, v42, v108
	;; [unrolled: 2-line block ×3, first 2 shown]
	v_add_f16_e32 v37, v37, v22
	v_add_f16_e32 v30, v36, v30
	;; [unrolled: 1-line block ×4, first 2 shown]
	v_mul_f16_e32 v119, 0x3bf1, v88
	v_mul_f16_e32 v88, 0x3770, v88
	v_mul_f16_e32 v120, 0xbbf1, v90
	v_mul_f16_e32 v121, 0xb3a8, v90
	v_mul_f16_e32 v122, 0x3b7b, v90
	v_mul_f16_e32 v123, 0x3770, v90
	v_mul_f16_e32 v124, 0xba95, v90
	v_mul_f16_e32 v90, 0xb94e, v90
	v_mul_f16_e32 v125, 0xbbf1, v92
	v_mul_f16_e32 v126, 0xb3a8, v92
	v_mul_f16_e32 v127, 0x3b7b, v92
	v_mul_f16_e64 v128, 0x3770, v92
	v_fma_f16 v109, v42, 0xb5ac, -v109
	v_fma_f16 v149, 0xb9fd, v42, v111
	v_fma_f16 v111, v42, 0xb9fd, -v111
	v_fma_f16 v150, 0xbbc4, v42, v38
	v_fma_f16 v38, v42, 0xbbc4, -v38
	v_fma_f16 v42, v86, 0x388b, -v112
	v_fmac_f16_e32 v112, 0x388b, v86
	v_fma_f16 v151, v86, 0xb5ac, -v113
	v_fmac_f16_e32 v113, 0xb5ac, v86
	;; [unrolled: 2-line block ×6, first 2 shown]
	v_fmamk_f16 v86, v89, 0x388b, v96
	v_fma_f16 v96, v89, 0x388b, -v96
	v_fma_f16 v156, 0xb5ac, v89, v110
	v_fma_f16 v110, v89, 0xb5ac, -v110
	v_fma_f16 v157, 0xbbc4, v89, v117
	;; [unrolled: 2-line block ×3, first 2 shown]
	v_add_f16_e64 v140, v12, v140
	v_add_f16_e32 v101, v12, v101
	v_add_f16_e64 v141, v12, v141
	v_add_f16_e32 v102, v12, v102
	;; [unrolled: 2-line block ×6, first 2 shown]
	v_add_f16_e32 v39, v35, v40
	v_add_f16_e32 v40, v35, v106
	v_add_f16_e64 v106, v35, v146
	v_add_f16_e32 v107, v35, v107
	v_add_f16_e64 v146, v35, v147
	v_add_f16_e32 v108, v35, v108
	v_add_f16_e64 v147, v35, v148
	v_add_f16_e32 v37, v37, v27
	v_add_f16_e32 v30, v30, v31
	v_mul_f16_e64 v129, 0xba95, v92
	v_mul_f16_e32 v92, 0xb94e, v92
	v_mul_f16_e64 v130, 0xbb7b, v94
	v_mul_f16_e64 v133, 0x394e, v99
	;; [unrolled: 1-line block ×6, first 2 shown]
	v_fma_f16 v118, v89, 0xb9fd, -v118
	v_fma_f16 v159, 0x2fb7, v89, v119
	v_fma_f16 v119, v89, 0x2fb7, -v119
	v_fma_f16 v160, 0x3b15, v89, v88
	v_fma_f16 v88, v89, 0x3b15, -v88
	v_fma_f16 v89, v91, 0x2fb7, -v120
	v_fmac_f16_e32 v120, 0x2fb7, v91
	v_fma_f16 v161, v91, 0xbbc4, -v121
	v_fmac_f16_e32 v121, 0xbbc4, v91
	;; [unrolled: 2-line block ×6, first 2 shown]
	v_fmamk_f16 v91, v93, 0x2fb7, v125
	v_fma_f16 v97, v93, 0x2fb7, -v125
	v_fmamk_f16 v98, v93, 0xbbc4, v126
	v_fma_f16 v125, v93, 0xbbc4, -v126
	v_fmamk_f16 v126, v93, 0xb5ac, v127
	v_fma_f16 v166, 0x3b15, v93, v128
	v_add_f16_e32 v109, v35, v109
	v_add_f16_e64 v148, v35, v149
	v_add_f16_e32 v111, v35, v111
	v_add_f16_e64 v149, v35, v150
	;; [unrolled: 2-line block ×3, first 2 shown]
	v_add_f16_e32 v39, v86, v39
	v_add_f16_e32 v41, v112, v101
	;; [unrolled: 1-line block ×3, first 2 shown]
	v_add_f16_e64 v86, v156, v106
	v_add_f16_e32 v87, v113, v102
	v_add_f16_e32 v96, v110, v107
	v_add_f16_e64 v101, v152, v142
	v_add_f16_e64 v102, v157, v146
	v_add_f16_e32 v106, v117, v108
	v_add_f16_e64 v107, v153, v143
	v_add_f16_e64 v108, v158, v147
	v_add_f16_e32 v32, v37, v32
	v_add_f16_e32 v29, v30, v29
	v_mul_f16_e64 v132, 0x394e, v94
	v_mul_f16_e64 v138, 0x33a8, v94
	;; [unrolled: 1-line block ×3, first 2 shown]
	v_fma_f16 v127, v93, 0xb5ac, -v127
	v_fma_f16 v128, v93, 0x3b15, -v128
	v_fma_f16 v167, 0x388b, v93, v129
	v_fma_f16 v129, v93, 0x388b, -v129
	v_fma_f16 v168, 0xb9fd, v93, v92
	v_fma_f16 v92, v93, 0xb9fd, -v92
	v_fma_f16 v93, v95, 0xb5ac, -v130
	v_fma_f16 v171, 0xb9fd, v100, v133
	v_fma_f16 v133, v100, 0xb9fd, -v133
	;; [unrolled: 3-line block ×3, first 2 shown]
	v_fma_f16 v175, 0x2fb7, v100, v137
	v_add_f16_e32 v111, v119, v111
	v_add_f16_e32 v12, v85, v12
	;; [unrolled: 1-line block ×8, first 2 shown]
	v_add_f16_e64 v88, v162, v101
	v_add_f16_e32 v89, v126, v102
	v_add_f16_e64 v97, v163, v107
	v_add_f16_e64 v98, v166, v108
	v_add_f16_e32 v32, v32, v34
	v_add_f16_e32 v28, v29, v28
	v_mul_f16_e32 v29, 0x3a95, v94
	v_sub_f16_e32 v94, v23, v25
	v_mul_f16_e64 v131, 0xbb7b, v99
	v_fmac_f16_e64 v130, 0xb5ac, v95
	v_fma_f16 v170, v95, 0xb9fd, -v132
	v_fmac_f16_e64 v132, 0xb9fd, v95
	v_fmac_f16_e64 v134, 0x3b15, v95
	v_fma_f16 v135, v100, 0x3b15, -v135
	v_fmac_f16_e64 v136, 0x2fb7, v95
	v_add_f16_e32 v96, v127, v106
	v_add_f16_e64 v106, v129, v111
	v_add_f16_e32 v35, v92, v35
	v_add_f16_e32 v38, v93, v38
	v_add_f16_e64 v37, v133, v87
	v_add_f16_e64 v87, v172, v88
	v_add_f16_e64 v88, v173, v89
	v_add_f16_e64 v89, v174, v97
	v_add_f16_e32 v31, v32, v33
	v_add_f16_e64 v32, v175, v98
	v_fma_f16 v30, v95, 0xbbc4, -v138
	v_fmac_f16_e64 v138, 0xbbc4, v95
	v_mul_f16_e32 v92, 0x3a95, v99
	v_fma_f16 v93, v95, 0x388b, -v29
	v_fmac_f16_e32 v29, 0x388b, v95
	v_fma_f16 v95, v100, 0xbbc4, -v139
	v_add_f16_e32 v97, v26, v27
	v_mul_f16_e32 v98, 0xb94e, v94
	v_sub_f16_e32 v26, v26, v27
	v_fma_f16 v169, 0xb5ac, v100, v131
	v_add_f16_e64 v42, v151, v141
	v_add_f16_e32 v39, v91, v39
	v_add_f16_e32 v12, v90, v12
	v_add_f16_e64 v36, v135, v96
	v_fmamk_f16 v96, v100, 0x388b, v92
	v_fma_f16 v92, v100, 0x388b, -v92
	v_add_f16_e32 v27, v95, v106
	v_add_f16_e32 v23, v23, v25
	v_fma_f16 v25, v97, 0xb9fd, -v98
	v_mul_f16_e32 v95, 0xb94e, v26
	v_fma_f16 v131, v100, 0xb5ac, -v131
	v_add_f16_e32 v41, v120, v41
	v_add_f16_e64 v42, v161, v42
	v_add_f16_e64 v39, v169, v39
	v_add_f16_e32 v12, v29, v12
	v_add_f16_e32 v29, v92, v35
	;; [unrolled: 1-line block ×3, first 2 shown]
	v_fmamk_f16 v35, v23, 0xb9fd, v95
	v_mul_f16_e32 v38, 0x3bf1, v94
	v_add_f16_e64 v41, v130, v41
	v_add_f16_e64 v40, v131, v40
	;; [unrolled: 1-line block ×3, first 2 shown]
	v_fmac_f16_e32 v98, 0xb9fd, v97
	v_fma_f16 v92, v23, 0xb9fd, -v95
	v_mul_f16_e32 v95, 0x3bf1, v26
	v_add_f16_e32 v35, v35, v39
	v_fma_f16 v39, v97, 0x2fb7, -v38
	v_add_f16_e64 v85, v171, v85
	v_add_f16_e32 v41, v98, v41
	v_add_f16_e32 v40, v92, v40
	v_fmamk_f16 v92, v23, 0x2fb7, v95
	v_mul_f16_e32 v98, 0xba95, v94
	v_add_f16_e32 v39, v39, v42
	v_fma_f16 v42, v23, 0x2fb7, -v95
	v_add_f16_e32 v104, v115, v104
	v_add_f16_e64 v86, v132, v86
	v_fmac_f16_e32 v38, 0x2fb7, v97
	v_add_f16_e32 v85, v92, v85
	v_fma_f16 v92, v97, 0x388b, -v98
	v_mul_f16_e32 v95, 0xba95, v26
	v_add_f16_e32 v37, v42, v37
	v_mul_f16_e32 v42, 0x33a8, v94
	v_add_f16_e32 v103, v114, v103
	v_add_f16_e64 v110, v154, v144
	v_add_f16_e64 v112, v159, v148
	v_add_f16_e32 v105, v116, v105
	v_add_f16_e32 v101, v123, v104
	;; [unrolled: 1-line block ×4, first 2 shown]
	v_fmamk_f16 v87, v23, 0x388b, v95
	v_fma_f16 v92, v23, 0x388b, -v95
	v_fma_f16 v95, v97, 0xbbc4, -v42
	v_mul_f16_e32 v99, 0x33a8, v26
	v_add_f16_e32 v91, v122, v103
	v_add_f16_e64 v103, v164, v110
	v_add_f16_e64 v104, v167, v112
	v_add_f16_e32 v105, v124, v105
	v_add_f16_e64 v33, v136, v101
	v_add_f16_e32 v13, v31, v13
	v_fma_f16 v31, 0xbbc4, v100, v139
	v_add_f16_e32 v87, v87, v88
	v_add_f16_e32 v36, v92, v36
	;; [unrolled: 1-line block ×3, first 2 shown]
	v_fmamk_f16 v89, v23, 0xbbc4, v99
	v_mul_f16_e32 v92, 0x3770, v94
	v_fmac_f16_e32 v42, 0xbbc4, v97
	v_mul_f16_e32 v95, 0x3770, v26
	v_add_f16_e64 v113, v155, v145
	v_add_f16_e64 v34, v134, v91
	v_add_f16_e32 v30, v30, v103
	v_add_f16_e32 v31, v31, v104
	v_add_f16_e64 v91, v138, v105
	v_add_f16_e32 v32, v89, v32
	v_fma_f16 v89, v97, 0x3b15, -v92
	v_add_f16_e32 v33, v42, v33
	v_fmamk_f16 v42, v23, 0x3b15, v95
	v_fmac_f16_e32 v92, 0x3b15, v97
	v_add_f16_e64 v107, v165, v113
	v_fmac_f16_e32 v98, 0x388b, v97
	v_add_f16_e32 v30, v89, v30
	v_mul_f16_e32 v89, 0xbb7b, v94
	v_add_f16_e32 v31, v42, v31
	v_mul_f16_e32 v26, 0xbb7b, v26
	v_add_f16_e32 v42, v92, v91
	v_fma_f16 v91, v23, 0x3b15, -v95
	v_add_f16_e64 v114, v160, v149
	v_add_f16_e32 v93, v93, v107
	v_add_f16_e32 v34, v98, v34
	v_fma_f16 v98, v23, 0xbbc4, -v99
	v_fma_f16 v92, v97, 0xb5ac, -v89
	v_fmamk_f16 v94, v23, 0xb5ac, v26
	v_fma_f16 v23, v23, 0xb5ac, -v26
	v_add_f16_e32 v26, v91, v27
	v_sub_f16_e32 v27, v19, v20
	v_add_f16_e64 v108, v168, v114
	v_fmac_f16_e32 v89, 0xb5ac, v97
	v_add_f16_e32 v91, v92, v93
	v_sub_f16_e32 v92, v21, v22
	v_add_f16_e32 v21, v21, v22
	v_mul_f16_e32 v22, 0xb3a8, v27
	v_add_f16_e32 v96, v96, v108
	v_add_f16_e32 v19, v19, v20
	v_mul_f16_e32 v20, 0xb3a8, v92
	v_add_f16_e32 v12, v89, v12
	v_add_f16_e32 v23, v23, v29
	v_fma_f16 v29, v21, 0xbbc4, -v22
	v_mul_f16_e32 v89, 0x3770, v27
	v_add_f16_e32 v93, v94, v96
	v_fmamk_f16 v94, v19, 0xbbc4, v20
	v_fma_f16 v20, v19, 0xbbc4, -v20
	v_mul_f16_e32 v96, 0x3770, v92
	v_add_f16_e32 v29, v29, v25
	v_fma_f16 v25, v21, 0x3b15, -v89
	v_add_f16_e32 v35, v94, v35
	v_add_f16_e32 v95, v20, v40
	v_fmamk_f16 v20, v19, 0x3b15, v96
	v_mul_f16_e32 v40, 0xb94e, v27
	v_add_f16_e32 v39, v25, v39
	v_fma_f16 v25, v19, 0x3b15, -v96
	v_fmac_f16_e32 v89, 0x3b15, v21
	v_add_f16_e32 v20, v20, v85
	v_fma_f16 v85, v21, 0xb9fd, -v40
	v_mul_f16_e32 v94, 0xb94e, v92
	v_add_f16_e32 v37, v25, v37
	v_mul_f16_e32 v25, 0x3a95, v27
	v_add_f16_e32 v38, v89, v38
	v_add_f16_e32 v86, v85, v86
	v_fmamk_f16 v85, v19, 0xb9fd, v94
	v_fmac_f16_e32 v40, 0xb9fd, v21
	v_fma_f16 v89, v19, 0xb9fd, -v94
	v_fma_f16 v94, v21, 0x388b, -v25
	v_mul_f16_e32 v96, 0x3a95, v92
	v_add_f16_e32 v87, v85, v87
	v_add_f16_e32 v34, v40, v34
	;; [unrolled: 1-line block ×4, first 2 shown]
	v_fmamk_f16 v85, v19, 0x388b, v96
	v_mul_f16_e32 v88, 0xbb7b, v27
	v_fmac_f16_e32 v25, 0x388b, v21
	v_mul_f16_e32 v89, 0xbb7b, v92
	v_add_f16_e32 v109, v118, v109
	v_add_f16_e32 v32, v85, v32
	v_fma_f16 v85, v21, 0xb5ac, -v88
	v_add_f16_e32 v33, v25, v33
	v_fmamk_f16 v25, v19, 0xb5ac, v89
	v_fma_f16 v137, v100, 0x2fb7, -v137
	v_add_f16_e64 v102, v128, v109
	v_add_f16_e32 v30, v85, v30
	v_fma_f16 v85, v19, 0xb5ac, -v89
	v_mul_f16_e32 v27, 0x3bf1, v27
	v_add_f16_e32 v31, v25, v31
	v_mul_f16_e32 v25, 0x3bf1, v92
	v_add_f16_e64 v90, v137, v102
	v_add_f16_e32 v26, v85, v26
	v_fmac_f16_e32 v22, 0xbbc4, v21
	v_fma_f16 v85, v21, 0x2fb7, -v27
	v_fma_f16 v94, v19, 0x388b, -v96
	v_fmac_f16_e32 v88, 0xb5ac, v21
	v_fmac_f16_e32 v27, 0x2fb7, v21
	v_fmamk_f16 v21, v19, 0x2fb7, v25
	v_fma_f16 v19, v19, 0x2fb7, -v25
	v_add_f16_e32 v90, v98, v90
	v_add_f16_e32 v25, v22, v41
	;; [unrolled: 1-line block ×3, first 2 shown]
	v_add_lshl_u32 v85, v17, v18, 2
	v_pack_b32_f16 v13, v13, v28
	v_pack_b32_f16 v17, v29, v35
	v_add_f16_e32 v21, v21, v93
	v_add_f16_e32 v12, v27, v12
	;; [unrolled: 1-line block ×3, first 2 shown]
	v_pack_b32_f16 v18, v39, v20
	v_pack_b32_f16 v20, v86, v87
	v_add_f16_e32 v90, v94, v90
	v_add_f16_e32 v42, v88, v42
	ds_store_2addr_b32 v85, v13, v17 offset1:13
	ds_store_2addr_b32 v85, v18, v20 offset0:26 offset1:39
	v_pack_b32_f16 v13, v40, v32
	v_pack_b32_f16 v17, v30, v31
	;; [unrolled: 1-line block ×9, first 2 shown]
	ds_store_2addr_b32 v85, v13, v17 offset0:52 offset1:65
	ds_store_2addr_b32 v85, v18, v12 offset0:78 offset1:91
	ds_store_2addr_b32 v85, v19, v20 offset0:104 offset1:117
	ds_store_2addr_b32 v85, v21, v22 offset0:130 offset1:143
	ds_store_b32 v85, v23 offset:624
	global_wb scope:SCOPE_SE
	s_wait_dscnt 0x0
	s_barrier_signal -1
	s_barrier_wait -1
	global_inv scope:SCOPE_SE
	ds_load_2addr_b32 v[33:34], v43 offset1:52
	ds_load_2addr_b32 v[27:28], v43 offset0:104 offset1:169
	ds_load_2addr_b32 v[41:42], v16 offset0:82 offset1:134
	;; [unrolled: 1-line block ×5, first 2 shown]
	v_add_co_u32 v29, s0, s8, v43
	s_wait_alu 0xf1ff
	v_add_co_ci_u32_e64 v30, null, s9, 0, s0
                                        ; implicit-def: $vgpr32
                                        ; implicit-def: $vgpr96
                                        ; implicit-def: $vgpr97
                                        ; implicit-def: $vgpr98
	s_and_saveexec_b32 s0, vcc_lo
	s_cbranch_execz .LBB0_3
; %bb.2:
	v_add_nc_u32_e32 v12, 0x700, v43
	ds_load_2addr_b32 v[25:26], v72 offset0:28 offset1:197
	ds_load_2addr_b32 v[31:32], v12 offset0:46 offset1:215
	s_wait_dscnt 0x1
	v_lshrrev_b32_e32 v95, 16, v25
	v_lshrrev_b32_e32 v98, 16, v26
	s_wait_dscnt 0x0
	v_lshrrev_b32_e32 v97, 16, v31
	v_lshrrev_b32_e32 v96, 16, v32
.LBB0_3:
	s_wait_alu 0xfffe
	s_or_b32 exec_lo, exec_lo, s0
	v_mad_co_u64_u32 v[12:13], null, v63, 12, s[10:11]
	s_wait_dscnt 0x4
	v_lshrrev_b32_e32 v100, 16, v28
	s_wait_dscnt 0x3
	v_lshrrev_b32_e32 v101, 16, v41
	;; [unrolled: 2-line block ×4, first 2 shown]
	v_lshrrev_b32_e32 v105, 16, v42
	s_wait_dscnt 0x0
	v_lshrrev_b32_e32 v106, 16, v37
	s_clause 0x2
	global_load_b96 v[21:23], v[12:13], off offset:624
	global_load_b96 v[18:20], v[12:13], off offset:1248
	;; [unrolled: 1-line block ×3, first 2 shown]
	v_add_nc_u32_e32 v12, 0x9c, v63
	v_add_nc_u32_e32 v13, -13, v63
	v_lshrrev_b32_e32 v108, 16, v40
	v_lshrrev_b32_e32 v109, 16, v35
	;; [unrolled: 1-line block ×4, first 2 shown]
	v_cndmask_b32_e32 v12, v13, v12, vcc_lo
	v_lshrrev_b32_e32 v103, 16, v34
	v_lshrrev_b32_e32 v107, 16, v27
	s_delay_alu instid0(VALU_DEP_3) | instskip(SKIP_1) | instid1(VALU_DEP_2)
	v_mul_i32_i24_e32 v13, 12, v12
	v_mul_hi_i32_i24_e32 v14, 12, v12
	v_add_co_u32 v12, s0, s10, v13
	s_wait_alu 0xf1ff
	s_delay_alu instid0(VALU_DEP_2)
	v_add_co_ci_u32_e64 v13, s0, s11, v14, s0
	global_load_b96 v[12:14], v[12:13], off offset:624
	s_wait_loadcnt 0x3
	v_lshrrev_b32_e32 v94, 16, v21
	v_lshrrev_b32_e32 v93, 16, v22
	v_lshrrev_b32_e32 v92, 16, v23
	s_wait_loadcnt 0x2
	v_lshrrev_b32_e32 v91, 16, v18
	v_lshrrev_b32_e32 v90, 16, v19
	v_lshrrev_b32_e32 v89, 16, v20
	;; [unrolled: 4-line block ×3, first 2 shown]
	v_mul_f16_e32 v111, v100, v94
	v_mul_f16_e32 v112, v28, v94
	;; [unrolled: 1-line block ×17, first 2 shown]
	v_mul_f16_e64 v128, v38, v86
	v_fma_f16 v28, v28, v21, -v111
	v_fmac_f16_e32 v112, v100, v21
	v_fma_f16 v100, v41, v22, -v113
	v_fmac_f16_e32 v114, v101, v22
	;; [unrolled: 2-line block ×8, first 2 shown]
	v_fma_f16 v38, v38, v17, -v127
	v_fmac_f16_e64 v128, v110, v17
	s_wait_loadcnt 0x0
	v_lshrrev_b32_e32 v40, 16, v12
	v_lshrrev_b32_e32 v41, 16, v13
	;; [unrolled: 1-line block ×3, first 2 shown]
	v_sub_f16_e32 v100, v33, v100
	v_sub_f16_e32 v104, v99, v114
	v_sub_f16_e32 v36, v28, v36
	v_sub_f16_e32 v105, v112, v116
	v_sub_f16_e32 v42, v34, v42
	v_sub_f16_e32 v106, v103, v120
	v_sub_f16_e32 v37, v101, v37
	v_sub_f16_e32 v108, v118, v122
	v_sub_f16_e32 v35, v27, v35
	v_sub_f16_e32 v109, v107, v126
	v_sub_f16_e32 v38, v102, v38
	v_sub_f16_e64 v110, v124, v128
	v_mul_f16_e32 v111, v98, v40
	v_mul_f16_e32 v113, v26, v40
	;; [unrolled: 1-line block ×6, first 2 shown]
	v_fma_f16 v33, v33, 2.0, -v100
	v_fma_f16 v99, v99, 2.0, -v104
	v_fma_f16 v28, v28, 2.0, -v36
	v_fma_f16 v112, v112, 2.0, -v105
	v_sub_f16_e32 v105, v100, v105
	v_add_f16_e32 v36, v104, v36
	v_fma_f16 v34, v34, 2.0, -v42
	v_fma_f16 v103, v103, 2.0, -v106
	v_fma_f16 v101, v101, 2.0, -v37
	v_fma_f16 v118, v118, 2.0, -v108
	v_sub_f16_e32 v108, v42, v108
	v_add_f16_e32 v37, v106, v37
	;; [unrolled: 6-line block ×3, first 2 shown]
	v_fma_f16 v26, v26, v12, -v111
	v_fmac_f16_e32 v113, v98, v12
	v_fma_f16 v31, v31, v13, -v114
	v_fmac_f16_e32 v115, v97, v13
	;; [unrolled: 2-line block ×3, first 2 shown]
	v_sub_f16_e32 v28, v33, v28
	v_sub_f16_e32 v96, v99, v112
	v_fma_f16 v97, v100, 2.0, -v105
	v_fma_f16 v98, v104, 2.0, -v36
	v_sub_f16_e32 v100, v34, v101
	v_sub_f16_e32 v101, v103, v118
	v_fma_f16 v42, v42, 2.0, -v108
	v_fma_f16 v104, v106, 2.0, -v37
	;; [unrolled: 4-line block ×3, first 2 shown]
	v_pack_b32_f16 v36, v105, v36
	v_pack_b32_f16 v37, v108, v37
	;; [unrolled: 1-line block ×3, first 2 shown]
	v_sub_f16_e32 v105, v25, v31
	v_sub_f16_e32 v108, v95, v115
	;; [unrolled: 1-line block ×4, first 2 shown]
	v_fma_f16 v33, v33, 2.0, -v28
	v_fma_f16 v99, v99, 2.0, -v96
	;; [unrolled: 1-line block ×6, first 2 shown]
	v_pack_b32_f16 v97, v97, v98
	v_pack_b32_f16 v96, v28, v96
	;; [unrolled: 1-line block ×3, first 2 shown]
	v_fma_f16 v25, v25, 2.0, -v105
	v_fma_f16 v31, v95, 2.0, -v108
	v_fma_f16 v26, v26, 2.0, -v32
	v_fma_f16 v95, v113, 2.0, -v110
	v_sub_f16_e32 v28, v105, v110
	v_add_f16_e32 v42, v108, v32
	v_pack_b32_f16 v32, v33, v99
	ds_store_b32 v43, v97 offset:676
	ds_store_b32 v43, v96 offset:1352
	;; [unrolled: 1-line block ×3, first 2 shown]
	v_pack_b32_f16 v33, v34, v103
	v_pack_b32_f16 v34, v27, v107
	v_sub_f16_e32 v27, v25, v26
	v_sub_f16_e32 v95, v31, v95
	v_fma_f16 v26, v105, 2.0, -v28
	v_fma_f16 v96, v108, 2.0, -v42
	v_pack_b32_f16 v100, v100, v101
	v_pack_b32_f16 v35, v35, v109
	;; [unrolled: 1-line block ×3, first 2 shown]
	ds_store_2addr_b32 v43, v32, v33 offset1:52
	ds_store_b32 v43, v37 offset:2236
	ds_store_b32 v43, v100 offset:1560
	;; [unrolled: 1-line block ×3, first 2 shown]
	ds_store_2addr_b32 v72, v98, v35 offset0:93 offset1:145
	ds_store_b32 v43, v101 offset:1768
	ds_store_b32 v43, v38 offset:2444
	s_and_saveexec_b32 s0, vcc_lo
	s_cbranch_execz .LBB0_5
; %bb.4:
	v_fma_f16 v25, v25, 2.0, -v27
	v_fma_f16 v31, v31, 2.0, -v95
	v_perm_b32 v32, v96, v26, 0x5040100
	v_add_nc_u32_e32 v33, 0x200, v43
	v_perm_b32 v34, v95, v27, 0x5040100
	v_add_nc_u32_e32 v35, 0x700, v43
	v_pack_b32_f16 v25, v25, v31
	v_perm_b32 v31, v42, v28, 0x5040100
	ds_store_2addr_b32 v33, v25, v32 offset0:28 offset1:197
	ds_store_2addr_b32 v35, v34, v31 offset0:46 offset1:215
.LBB0_5:
	s_wait_alu 0xfffe
	s_or_b32 exec_lo, exec_lo, s0
	s_add_nc_u64 s[0:1], s[8:9], 0xa90
	global_wb scope:SCOPE_SE
	s_wait_dscnt 0x0
	s_barrier_signal -1
	s_barrier_wait -1
	global_inv scope:SCOPE_SE
	s_clause 0xc
	global_load_b32 v25, v[29:30], off offset:2704
	global_load_b32 v31, v43, s[0:1] offset:208
	global_load_b32 v99, v43, s[0:1] offset:624
	;; [unrolled: 1-line block ×12, first 2 shown]
	ds_load_2addr_b32 v[29:30], v43 offset1:52
	v_add_nc_u32_e32 v72, 0x200, v43
	v_add_nc_u32_e32 v98, 0x400, v43
	v_add_nc_u32_e32 v97, 0x800, v43
	s_wait_dscnt 0x0
	v_lshrrev_b32_e32 v32, 16, v29
	v_lshrrev_b32_e32 v34, 16, v30
	s_wait_loadcnt 0xc
	v_lshrrev_b32_e32 v33, 16, v25
	s_wait_loadcnt 0xb
	;; [unrolled: 2-line block ×4, first 2 shown]
	v_lshrrev_b32_e32 v111, 16, v101
	v_mul_f16_e32 v36, v32, v33
	v_mul_f16_e32 v33, v29, v33
	;; [unrolled: 1-line block ×4, first 2 shown]
	s_wait_loadcnt 0x7
	v_lshrrev_b32_e32 v112, 16, v102
	v_fma_f16 v29, v29, v25, -v36
	v_fmac_f16_e32 v33, v32, v25
	v_fma_f16 v25, v30, v31, -v37
	v_fmac_f16_e32 v35, v34, v31
	s_wait_loadcnt 0x1
	v_lshrrev_b32_e32 v117, 16, v108
	v_lshrrev_b32_e32 v113, 16, v103
	v_pack_b32_f16 v29, v29, v33
	v_lshrrev_b32_e32 v114, 16, v104
	v_pack_b32_f16 v25, v25, v35
	v_lshrrev_b32_e32 v115, 16, v105
	v_lshrrev_b32_e32 v118, 16, v106
	s_wait_loadcnt 0x0
	v_lshrrev_b32_e32 v119, 16, v109
	v_lshrrev_b32_e32 v120, 16, v107
	ds_store_2addr_b32 v43, v29, v25 offset1:52
	ds_load_2addr_b32 v[29:30], v43 offset0:104 offset1:156
	ds_load_2addr_b32 v[31:32], v72 offset0:80 offset1:132
	ds_load_2addr_b32 v[33:34], v98 offset0:56 offset1:108
	ds_load_2addr_b32 v[35:36], v98 offset0:160 offset1:212
	ds_load_b32 v116, v43 offset:2496
	ds_load_2addr_b32 v[37:38], v97 offset0:8 offset1:60
	v_lshrrev_b32_e32 v25, 16, v99
	s_wait_dscnt 0x5
	v_lshrrev_b32_e32 v121, 16, v29
	v_lshrrev_b32_e32 v123, 16, v30
	s_wait_dscnt 0x4
	v_lshrrev_b32_e32 v125, 16, v31
	;; [unrolled: 3-line block ×5, first 2 shown]
	v_lshrrev_b32_e32 v139, 16, v38
	v_lshrrev_b32_e32 v141, 16, v116
	v_mul_f16_e32 v122, v29, v117
	v_mul_f16_e32 v124, v30, v25
	;; [unrolled: 1-line block ×5, first 2 shown]
	v_mul_f16_e64 v128, v32, v111
	v_mul_f16_e32 v110, v125, v110
	v_mul_f16_e32 v111, v127, v111
	v_mul_f16_e64 v130, v33, v112
	v_mul_f16_e64 v132, v34, v113
	;; [unrolled: 1-line block ×14, first 2 shown]
	v_fmac_f16_e32 v122, v121, v108
	v_fmac_f16_e32 v124, v123, v99
	v_fma_f16 v29, v29, v108, -v117
	v_fma_f16 v25, v30, v99, -v25
	v_fmac_f16_e32 v126, v125, v100
	v_fmac_f16_e64 v128, v127, v101
	v_fma_f16 v30, v31, v100, -v110
	v_fma_f16 v31, v32, v101, -v111
	v_fmac_f16_e64 v130, v129, v102
	v_fmac_f16_e64 v132, v131, v103
	v_fma_f16 v32, v33, v102, -v112
	v_fma_f16 v33, v34, v103, -v113
	v_fmac_f16_e64 v134, v133, v104
	;; [unrolled: 4-line block ×3, first 2 shown]
	v_fmac_f16_e64 v140, v139, v109
	v_fmac_f16_e64 v142, v141, v107
	v_fma_f16 v36, v37, v106, -v118
	v_fma_f16 v37, v38, v109, -v119
	;; [unrolled: 1-line block ×3, first 2 shown]
	v_pack_b32_f16 v29, v29, v122
	v_pack_b32_f16 v25, v25, v124
	;; [unrolled: 1-line block ×11, first 2 shown]
	ds_store_2addr_b32 v43, v29, v25 offset0:104 offset1:156
	ds_store_2addr_b32 v72, v30, v31 offset0:80 offset1:132
	;; [unrolled: 1-line block ×5, first 2 shown]
	ds_store_b32 v43, v38 offset:2496
	global_wb scope:SCOPE_SE
	s_wait_dscnt 0x0
	s_barrier_signal -1
	s_barrier_wait -1
	global_inv scope:SCOPE_SE
	ds_load_2addr_b32 v[29:30], v43 offset1:52
	ds_load_b32 v25, v43 offset:2496
	ds_load_2addr_b32 v[99:100], v43 offset0:104 offset1:156
	ds_load_2addr_b32 v[31:32], v97 offset0:8 offset1:60
	;; [unrolled: 1-line block ×5, first 2 shown]
	global_wb scope:SCOPE_SE
	s_wait_dscnt 0x0
	s_barrier_signal -1
	s_barrier_wait -1
	global_inv scope:SCOPE_SE
	v_pk_add_f16 v101, v29, v30
	v_pk_add_f16 v102, v25, v30
	v_pk_add_f16 v30, v30, v25 neg_lo:[0,1] neg_hi:[0,1]
	v_pk_add_f16 v104, v32, v99
	v_pk_add_f16 v105, v99, v32 neg_lo:[0,1] neg_hi:[0,1]
	v_pk_add_f16 v99, v101, v99
	v_lshrrev_b32_e32 v116, 16, v102
	v_pk_mul_f16 v101, 0xb770, v30 op_sel_hi:[0,1]
	v_lshrrev_b32_e32 v115, 16, v30
	v_pk_add_f16 v106, v31, v100
	v_pk_add_f16 v99, v99, v100
	v_pk_add_f16 v107, v100, v31 neg_lo:[0,1] neg_hi:[0,1]
	v_pk_add_f16 v108, v34, v37
	v_pk_add_f16 v109, v37, v34 neg_lo:[0,1] neg_hi:[0,1]
	v_pk_mul_f16 v117, 0xba95, v105 op_sel_hi:[0,1]
	v_lshrrev_b32_e32 v118, 16, v105
	v_lshrrev_b32_e32 v119, 16, v104
	v_pk_fma_f16 v100, 0x3b15, v102, v101 op_sel:[0,0,1] op_sel_hi:[0,1,0]
	v_pk_fma_f16 v101, 0x3b15, v102, v101 op_sel:[0,0,1] op_sel_hi:[0,1,0] neg_lo:[0,0,1] neg_hi:[0,0,1]
	v_mul_f16_e64 v135, 0xba95, v115
	v_mul_f16_e64 v136, 0x388b, v116
	;; [unrolled: 1-line block ×5, first 2 shown]
	v_mul_f16_e32 v116, 0xb9fd, v116
	v_pk_add_f16 v37, v99, v37
	v_lshrrev_b32_e32 v103, 16, v29
	v_lshrrev_b32_e32 v121, 16, v107
	;; [unrolled: 1-line block ×3, first 2 shown]
	v_pk_mul_f16 v132, 0xbbc4, v102 op_sel_hi:[0,1]
	v_mul_f16_e64 v139, 0xbb7b, v115
	v_mul_f16_e32 v115, 0xb94e, v115
	v_pk_fma_f16 v141, 0x388b, v104, v117 op_sel:[0,0,1] op_sel_hi:[0,1,0]
	v_pk_fma_f16 v117, 0x388b, v104, v117 op_sel:[0,0,1] op_sel_hi:[0,1,0] neg_lo:[0,0,1] neg_hi:[0,0,1]
	v_mul_f16_e64 v142, 0xbb7b, v118
	v_mul_f16_e64 v143, 0xb5ac, v119
	;; [unrolled: 1-line block ×4, first 2 shown]
	v_bfi_b32 v99, 0xffff, v100, v101
	v_fma_f16 v178, 0x388b, v102, v135
	v_fma_f16 v179, 0x3a95, v30, v136
	v_fma_f16 v135, v102, 0x388b, -v135
	v_fmac_f16_e64 v136, 0xba95, v30
	v_fma_f16 v180, 0x2fb7, v102, v137
	v_fma_f16 v181, 0x3bf1, v30, v138
	v_fmac_f16_e64 v138, 0xbbf1, v30
	v_fma_f16 v183, 0x3b7b, v30, v140
	v_fmac_f16_e64 v140, 0xbb7b, v30
	v_fma_f16 v185, 0x394e, v30, v116
	v_fmac_f16_e32 v116, 0xb94e, v30
	v_pk_add_f16 v37, v37, v38
	v_pk_add_f16 v110, v33, v38
	v_pk_add_f16 v111, v38, v33 neg_lo:[0,1] neg_hi:[0,1]
	v_pk_add_f16 v112, v36, v35
	v_pk_add_f16 v113, v35, v36 neg_lo:[0,1] neg_hi:[0,1]
	v_lshrrev_b32_e32 v124, 16, v109
	v_lshrrev_b32_e32 v125, 16, v108
	v_mul_f16_e64 v146, 0x394e, v118
	v_mul_f16_e32 v118, 0x3bf1, v118
	v_mul_f16_e64 v149, 0xb3a8, v121
	v_mul_f16_e64 v150, 0xbbc4, v122
	;; [unrolled: 1-line block ×4, first 2 shown]
	v_pk_fma_f16 v176, 0xb3a8, v30, v132 op_sel:[0,0,1] op_sel_hi:[0,1,0]
	v_pk_fma_f16 v132, 0xb3a8, v30, v132 op_sel:[0,0,1] op_sel_hi:[0,1,0] neg_lo:[0,1,0] neg_hi:[0,1,0]
	v_fma_f16 v137, v102, 0x2fb7, -v137
	v_fma_f16 v182, 0xb5ac, v102, v139
	v_fma_f16 v139, v102, 0xb5ac, -v139
	v_fma_f16 v184, 0xb9fd, v102, v115
	v_fma_f16 v102, v102, 0xb9fd, -v115
	v_bfi_b32 v30, 0xffff, v141, v117
	v_fma_f16 v115, 0xb5ac, v104, v142
	v_fma_f16 v186, 0x3b7b, v105, v143
	v_fma_f16 v142, v104, 0xb5ac, -v142
	v_fmac_f16_e64 v143, 0xbb7b, v105
	v_fma_f16 v187, 0xbbc4, v104, v144
	v_fma_f16 v188, 0x33a8, v105, v145
	v_pk_add_f16 v38, v29, v99
	v_add_f16_e64 v99, v103, v179
	v_add_f16_e64 v136, v103, v136
	;; [unrolled: 1-line block ×7, first 2 shown]
	v_add_f16_e32 v103, v103, v116
	v_add_f16_e64 v116, v29, v178
	v_add_f16_e64 v135, v29, v135
	;; [unrolled: 1-line block ×3, first 2 shown]
	v_pk_add_f16 v35, v37, v35
	v_pk_mul_f16 v120, 0xbbf1, v107 op_sel_hi:[0,1]
	v_lshrrev_b32_e32 v127, 16, v111
	v_lshrrev_b32_e32 v128, 16, v110
	v_pk_mul_f16 v133, 0x3b15, v104 op_sel_hi:[0,1]
	v_mul_f16_e64 v147, 0xb9fd, v119
	v_mul_f16_e32 v119, 0x2fb7, v119
	v_mul_f16_e64 v153, 0x3770, v121
	v_mul_f16_e32 v121, 0xba95, v121
	v_mul_f16_e64 v156, 0x394e, v124
	v_mul_f16_e64 v157, 0xb9fd, v125
	;; [unrolled: 1-line block ×4, first 2 shown]
	v_fma_f16 v144, v104, 0xbbc4, -v144
	v_fma_f16 v189, 0xb9fd, v104, v146
	v_fma_f16 v146, v104, 0xb9fd, -v146
	v_fma_f16 v191, 0x2fb7, v104, v118
	;; [unrolled: 2-line block ×3, first 2 shown]
	v_fma_f16 v194, 0x33a8, v107, v150
	v_fma_f16 v149, v106, 0xbbc4, -v149
	v_fmac_f16_e64 v150, 0xb3a8, v107
	v_fma_f16 v195, 0xb5ac, v106, v151
	v_fma_f16 v196, 0xbb7b, v107, v152
	v_add_f16_e32 v102, v29, v102
	v_pk_add_f16 v30, v30, v38
	v_add_f16_e32 v38, v115, v116
	v_add_f16_e64 v99, v186, v99
	v_add_f16_e64 v115, v142, v135
	v_add_f16_e64 v116, v143, v136
	v_add_f16_e64 v135, v187, v178
	v_add_f16_e64 v136, v188, v179
	v_pk_add_f16 v35, v35, v36
	v_pk_mul_f16 v123, 0xbb7b, v109 op_sel_hi:[0,1]
	v_lshrrev_b32_e32 v130, 16, v113
	v_lshrrev_b32_e32 v131, 16, v112
	v_pk_mul_f16 v134, 0xb9fd, v106 op_sel_hi:[0,1]
	v_pk_fma_f16 v148, 0x2fb7, v106, v120 op_sel:[0,0,1] op_sel_hi:[0,1,0]
	v_pk_fma_f16 v120, 0x2fb7, v106, v120 op_sel:[0,0,1] op_sel_hi:[0,1,0] neg_lo:[0,0,1] neg_hi:[0,0,1]
	v_mul_f16_e64 v154, 0x3b15, v122
	v_mul_f16_e32 v122, 0x388b, v122
	v_mul_f16_e64 v163, 0x3bf1, v127
	v_mul_f16_e64 v164, 0x2fb7, v128
	;; [unrolled: 1-line block ×4, first 2 shown]
	v_fmac_f16_e64 v145, 0xb3a8, v105
	v_fma_f16 v190, 0xb94e, v105, v147
	v_fmac_f16_e64 v147, 0x394e, v105
	v_fma_f16 v192, 0xbbf1, v105, v119
	v_fma_f16 v151, v106, 0xb5ac, -v151
	v_fma_f16 v197, 0x3b15, v106, v153
	v_fma_f16 v153, v106, 0x3b15, -v153
	;; [unrolled: 2-line block ×3, first 2 shown]
	v_fma_f16 v201, 0xb9fd, v108, v156
	v_fma_f16 v202, 0xb94e, v109, v157
	v_fma_f16 v156, v108, 0xb9fd, -v156
	v_fmac_f16_e64 v157, 0x394e, v109
	v_fma_f16 v203, 0x3b15, v108, v158
	v_fma_f16 v204, 0xb770, v109, v159
	v_add_f16_e64 v137, v29, v137
	v_add_f16_e64 v180, v29, v182
	;; [unrolled: 1-line block ×4, first 2 shown]
	v_add_f16_e32 v102, v104, v102
	v_add_f16_e64 v36, v193, v38
	v_add_f16_e64 v38, v194, v99
	;; [unrolled: 1-line block ×6, first 2 shown]
	v_pk_add_f16 v33, v35, v33
	v_pk_fma_f16 v155, 0xb5ac, v108, v123 op_sel:[0,0,1] op_sel_hi:[0,1,0]
	v_pk_fma_f16 v123, 0xb5ac, v108, v123 op_sel:[0,0,1] op_sel_hi:[0,1,0] neg_lo:[0,0,1] neg_hi:[0,0,1]
	v_mul_f16_e64 v160, 0xbbf1, v124
	v_mul_f16_e64 v161, 0x2fb7, v125
	v_mul_f16_e32 v124, 0x33a8, v124
	v_mul_f16_e32 v125, 0xbbc4, v125
	v_mul_f16_e64 v170, 0x3770, v130
	v_mul_f16_e64 v171, 0x3b15, v131
	;; [unrolled: 1-line block ×4, first 2 shown]
	v_fmac_f16_e32 v119, 0x3bf1, v105
	v_bfi_b32 v118, 0xffff, v148, v120
	v_fmac_f16_e64 v152, 0x3b7b, v107
	v_fma_f16 v198, 0xb770, v107, v154
	v_fmac_f16_e64 v154, 0x3770, v107
	v_fma_f16 v200, 0x3a95, v107, v122
	v_fma_f16 v210, 0x2fb7, v110, v163
	;; [unrolled: 1-line block ×3, first 2 shown]
	v_fma_f16 v163, v110, 0x2fb7, -v163
	v_fmac_f16_e64 v164, 0x3bf1, v111
	v_fma_f16 v212, 0x388b, v110, v165
	v_fma_f16 v213, 0x3a95, v111, v166
	v_add_f16_e64 v37, v144, v137
	v_add_f16_e64 v137, v145, v138
	;; [unrolled: 1-line block ×8, first 2 shown]
	v_add_f16_e32 v102, v106, v102
	v_add_f16_e64 v35, v201, v36
	v_add_f16_e64 v36, v202, v38
	;; [unrolled: 1-line block ×6, first 2 shown]
	v_pk_add_f16 v33, v33, v34
	v_mul_f16_e64 v167, 0x33a8, v127
	v_mul_f16_e64 v168, 0xbbc4, v128
	v_mul_f16_e32 v127, 0x3770, v127
	v_mul_f16_e64 v128, 0x3b15, v128
	v_fmac_f16_e32 v122, 0xba95, v107
	v_bfi_b32 v121, 0xffff, v155, v123
	v_fmac_f16_e64 v159, 0x3770, v109
	v_fma_f16 v205, 0x2fb7, v108, v160
	v_fma_f16 v206, 0x3bf1, v109, v161
	v_fma_f16 v160, v108, 0x2fb7, -v160
	v_fmac_f16_e64 v161, 0xbbf1, v109
	v_fma_f16 v207, 0xbbc4, v108, v124
	v_fma_f16 v208, 0xb3a8, v109, v125
	v_fma_f16 v219, 0x3b15, v112, v170
	v_fma_f16 v220, 0xb770, v113, v171
	v_fma_f16 v170, v112, 0x3b15, -v170
	v_fmac_f16_e64 v171, 0x3770, v113
	v_fma_f16 v221, 0xb9fd, v112, v172
	v_fma_f16 v222, 0x394e, v113, v173
	v_add_f16_e32 v103, v119, v103
	v_pk_add_f16 v30, v118, v30
	v_add_f16_e64 v118, v152, v137
	v_add_f16_e64 v119, v197, v138
	;; [unrolled: 1-line block ×13, first 2 shown]
	v_pk_add_f16 v31, v33, v31
	v_mul_f16_e64 v174, 0x3a95, v130
	v_mul_f16_e64 v175, 0x388b, v131
	;; [unrolled: 1-line block ×4, first 2 shown]
	v_pk_fma_f16 v177, 0x3770, v105, v133 op_sel:[0,0,1] op_sel_hi:[0,1,0]
	v_fmac_f16_e64 v166, 0xba95, v111
	v_fma_f16 v214, 0xbbc4, v110, v167
	v_fma_f16 v215, 0xb3a8, v111, v168
	v_fma_f16 v167, v110, 0xbbc4, -v167
	v_fmac_f16_e64 v168, 0x33a8, v111
	v_fma_f16 v216, 0x3b15, v110, v127
	v_fma_f16 v217, 0xb770, v111, v128
	s_wait_alu 0xfffe
	v_alignbit_b32 v227, s0, v176, 16
	v_add_f16_e32 v103, v122, v103
	v_pk_add_f16 v30, v121, v30
	v_add_f16_e64 v115, v159, v118
	v_add_f16_e64 v116, v205, v119
	;; [unrolled: 1-line block ×13, first 2 shown]
	v_pk_add_f16 v31, v31, v32
	v_alignbit_b32 v114, s0, v29, 16
	v_pk_mul_f16 v126, 0xb94e, v111 op_sel_hi:[0,1]
	v_fma_f16 v158, v108, 0x3b15, -v158
	v_fma_f16 v124, v108, 0xbbc4, -v124
	v_fmac_f16_e64 v173, 0xb94e, v113
	v_fma_f16 v223, 0x388b, v112, v174
	v_fma_f16 v224, 0xba95, v113, v175
	v_fma_f16 v174, v112, 0x388b, -v174
	v_fmac_f16_e64 v175, 0x3a95, v113
	v_fma_f16 v225, 0xb5ac, v112, v130
	v_fma_f16 v226, 0x3b7b, v113, v131
	v_pk_add_f16 v132, v29, v132 op_sel:[1,0] op_sel_hi:[0,1]
	v_pk_add_f16 v184, v29, v227
	v_add_f16_e64 v106, v166, v115
	v_add_f16_e64 v115, v214, v116
	;; [unrolled: 1-line block ×7, first 2 shown]
	v_pack_b32_f16 v38, v38, v99
	v_pk_add_f16 v25, v31, v25
	v_alignbit_b32 v31, s0, v177, 16
	v_pk_fma_f16 v99, 0x3770, v105, v133 op_sel:[0,0,1] op_sel_hi:[0,1,0] neg_lo:[0,1,0] neg_hi:[0,1,0]
	v_pk_fma_f16 v105, 0xb94e, v107, v134 op_sel:[0,0,1] op_sel_hi:[0,1,0]
	v_pk_mul_f16 v108, 0x388b, v108 op_sel_hi:[0,1]
	v_pk_fma_f16 v162, 0xb9fd, v110, v126 op_sel:[0,0,1] op_sel_hi:[0,1,0]
	v_pk_fma_f16 v126, 0xb9fd, v110, v126 op_sel:[0,0,1] op_sel_hi:[0,1,0] neg_lo:[0,0,1] neg_hi:[0,0,1]
	v_fma_f16 v165, v110, 0x388b, -v165
	v_fma_f16 v127, v110, 0x3b15, -v127
	v_add_f16_e64 v104, v173, v106
	v_add_f16_e64 v106, v223, v115
	;; [unrolled: 1-line block ×7, first 2 shown]
	v_pk_add_f16 v114, v114, v176
	v_pk_add_f16 v31, v31, v184
	;; [unrolled: 1-line block ×3, first 2 shown]
	v_alignbit_b32 v121, s0, v105, 16
	v_pk_fma_f16 v107, 0xb94e, v107, v134 op_sel:[0,0,1] op_sel_hi:[0,1,0] neg_lo:[0,1,0] neg_hi:[0,1,0]
	v_pk_fma_f16 v122, 0x3a95, v109, v108 op_sel:[0,0,1] op_sel_hi:[0,1,0]
	v_pk_mul_f16 v110, 0xb5ac, v110 op_sel_hi:[0,1]
	v_fmac_f16_e32 v125, 0x33a8, v109
	v_pk_add_f16 v114, v177, v114
	v_pk_add_f16 v31, v121, v31
	;; [unrolled: 1-line block ×3, first 2 shown]
	v_alignbit_b32 v107, s0, v122, 16
	v_pk_fma_f16 v108, 0x3a95, v109, v108 op_sel:[0,0,1] op_sel_hi:[0,1,0] neg_lo:[0,1,0] neg_hi:[0,1,0]
	v_pk_fma_f16 v109, 0xbb7b, v111, v110 op_sel:[0,0,1] op_sel_hi:[0,1,0]
	v_bfi_b32 v100, 0xffff, v101, v100
	v_pk_add_f16 v105, v105, v114
	v_pk_add_f16 v31, v107, v31
	v_pk_mul_f16 v107, 0x2fb7, v112 op_sel_hi:[0,1]
	v_alignbit_b32 v101, s0, v109, 16
	v_pk_add_f16 v29, v29, v100
	v_bfi_b32 v100, 0xffff, v117, v141
	v_add_f16_e64 v37, v151, v37
	v_pk_add_f16 v99, v108, v99
	v_pk_add_f16 v105, v122, v105
	v_pk_fma_f16 v108, 0xbb7b, v111, v110 op_sel:[0,0,1] op_sel_hi:[0,1,0] neg_lo:[0,1,0] neg_hi:[0,1,0]
	v_pk_add_f16 v31, v101, v31
	v_pk_fma_f16 v101, 0x3bf1, v113, v107 op_sel:[0,0,1] op_sel_hi:[0,1,0]
	v_pk_add_f16 v29, v100, v29
	v_bfi_b32 v100, 0xffff, v120, v148
	v_pk_mul_f16 v129, 0xb3a8, v113 op_sel_hi:[0,1]
	v_fmac_f16_e64 v128, 0x3770, v111
	v_add_f16_e64 v37, v158, v37
	v_add_f16_e32 v102, v124, v102
	v_add_f16_e32 v103, v125, v103
	v_pk_add_f16 v99, v108, v99
	v_pk_add_f16 v105, v109, v105
	v_alignbit_b32 v108, s0, v101, 16
	v_pk_fma_f16 v107, 0x3bf1, v113, v107 op_sel:[0,0,1] op_sel_hi:[0,1,0] neg_lo:[0,1,0] neg_hi:[0,1,0]
	v_pk_add_f16 v29, v100, v29
	v_bfi_b32 v100, 0xffff, v123, v155
	v_pk_fma_f16 v169, 0xbbc4, v112, v129 op_sel:[0,0,1] op_sel_hi:[0,1,0]
	v_pk_fma_f16 v129, 0xbbc4, v112, v129 op_sel:[0,0,1] op_sel_hi:[0,1,0] neg_lo:[0,0,1] neg_hi:[0,0,1]
	v_bfi_b32 v209, 0xffff, v162, v126
	v_fma_f16 v172, v112, 0xb9fd, -v172
	v_fma_f16 v130, v112, 0xb5ac, -v130
	v_fmac_f16_e64 v131, 0xbb7b, v113
	v_add_f16_e64 v37, v165, v37
	v_add_f16_e32 v102, v127, v102
	v_add_f16_e64 v103, v128, v103
	v_pack_b32_f16 v33, v33, v34
	v_pk_add_f16 v31, v108, v31
	v_pk_add_f16 v34, v107, v99
	;; [unrolled: 1-line block ×4, first 2 shown]
	v_bfi_b32 v100, 0xffff, v126, v162
	v_bfi_b32 v218, 0xffff, v169, v129
	v_pk_add_f16 v30, v209, v30
	v_add_f16_e64 v37, v172, v37
	v_add_f16_e64 v102, v130, v102
	;; [unrolled: 1-line block ×3, first 2 shown]
	v_alignbit_b32 v99, v99, v34, 16
	v_pack_b32_f16 v31, v31, v34
	v_pk_add_f16 v29, v100, v29
	v_bfi_b32 v34, 0xffff, v129, v169
	v_pk_add_f16 v30, v218, v30
	v_pack_b32_f16 v32, v119, v32
	v_pack_b32_f16 v101, v106, v115
	;; [unrolled: 1-line block ×6, first 2 shown]
	v_pk_add_f16 v29, v34, v29
	ds_store_2addr_b32 v71, v25, v30 offset1:1
	ds_store_2addr_b32 v71, v33, v38 offset0:2 offset1:3
	ds_store_2addr_b32 v71, v101, v32 offset0:4 offset1:5
	;; [unrolled: 1-line block ×5, first 2 shown]
	ds_store_b32 v71, v29 offset:48
	global_wb scope:SCOPE_SE
	s_wait_dscnt 0x0
	s_barrier_signal -1
	s_barrier_wait -1
	global_inv scope:SCOPE_SE
	ds_load_2addr_b32 v[29:30], v43 offset1:52
	ds_load_2addr_b32 v[31:32], v43 offset0:104 offset1:156
	ds_load_2addr_b32 v[33:34], v72 offset0:80 offset1:132
	;; [unrolled: 1-line block ×5, first 2 shown]
	ds_load_b32 v25, v43 offset:2496
	global_wb scope:SCOPE_SE
	s_wait_dscnt 0x0
	s_barrier_signal -1
	s_barrier_wait -1
	global_inv scope:SCOPE_SE
	v_lshrrev_b32_e32 v101, 16, v30
	v_lshrrev_b32_e32 v102, 16, v31
	;; [unrolled: 1-line block ×5, first 2 shown]
	v_mul_f16_e32 v112, v84, v101
	v_mul_f16_e32 v84, v84, v30
	;; [unrolled: 1-line block ×4, first 2 shown]
	v_lshrrev_b32_e32 v71, 16, v29
	v_fmac_f16_e32 v112, v8, v30
	v_mul_f16_e32 v30, v82, v103
	v_lshrrev_b32_e32 v106, 16, v35
	v_fma_f16 v84, v8, v101, -v84
	v_fmac_f16_e32 v114, v9, v31
	v_fma_f16 v31, v9, v102, -v83
	v_mul_f16_e32 v8, v82, v32
	v_fmac_f16_e32 v30, v10, v32
	v_mul_f16_e32 v32, v81, v104
	v_mul_f16_e32 v9, v80, v105
	;; [unrolled: 1-line block ×3, first 2 shown]
	v_fma_f16 v82, v10, v103, -v8
	v_mul_f16_e32 v10, v80, v34
	v_fmac_f16_e32 v32, v11, v33
	v_fmac_f16_e32 v9, v4, v34
	v_mul_f16_e32 v8, v79, v106
	v_mul_f16_e32 v33, v79, v35
	v_add_f16_e32 v34, v29, v112
	v_add_f16_e32 v79, v71, v84
	v_lshrrev_b32_e32 v107, 16, v36
	v_fmac_f16_e32 v8, v5, v35
	v_fma_f16 v5, v5, v106, -v33
	v_add_f16_e32 v33, v34, v114
	v_add_f16_e32 v34, v79, v31
	v_lshrrev_b32_e32 v108, 16, v37
	v_fma_f16 v11, v11, v104, -v81
	v_fma_f16 v10, v4, v105, -v10
	v_mul_f16_e32 v4, v78, v107
	v_mul_f16_e32 v35, v78, v36
	v_add_f16_e32 v33, v33, v30
	v_add_f16_e32 v34, v34, v82
	v_lshrrev_b32_e32 v109, 16, v38
	v_fmac_f16_e32 v4, v6, v36
	v_mul_f16_e32 v36, v77, v108
	v_fma_f16 v6, v6, v107, -v35
	v_mul_f16_e32 v35, v77, v37
	v_add_f16_e32 v33, v33, v32
	v_add_f16_e32 v34, v34, v11
	v_lshrrev_b32_e32 v110, 16, v99
	v_fmac_f16_e32 v36, v7, v37
	v_mul_f16_e32 v37, v76, v109
	v_fma_f16 v7, v7, v108, -v35
	v_mul_f16_e32 v35, v76, v38
	v_add_f16_e32 v33, v33, v9
	v_add_f16_e32 v34, v34, v10
	v_fmac_f16_e32 v37, v0, v38
	v_mul_f16_e32 v38, v75, v110
	v_fma_f16 v35, v0, v109, -v35
	v_add_f16_e32 v0, v33, v8
	v_add_f16_e32 v33, v34, v5
	v_mul_f16_e32 v34, v75, v99
	v_lshrrev_b32_e32 v113, 16, v25
	v_fmac_f16_e32 v38, v1, v99
	v_lshrrev_b32_e32 v111, 16, v100
	v_add_f16_e32 v33, v33, v6
	v_fma_f16 v34, v1, v110, -v34
	v_mul_f16_e32 v1, v74, v25
	v_add_f16_e32 v0, v0, v4
	v_mul_f16_e32 v74, v74, v113
	v_add_f16_e32 v33, v33, v7
	v_mul_f16_e32 v75, v73, v111
	v_fma_f16 v1, v3, v113, -v1
	v_add_f16_e32 v0, v0, v36
	v_mul_f16_e32 v73, v73, v100
	v_add_f16_e32 v33, v33, v35
	v_fmac_f16_e32 v74, v3, v25
	v_sub_f16_e32 v3, v84, v1
	v_fmac_f16_e32 v75, v2, v100
	v_add_f16_e32 v0, v0, v37
	v_fma_f16 v2, v2, v111, -v73
	v_add_f16_e32 v25, v33, v34
	v_add_f16_e32 v33, v112, v74
	v_mul_f16_e32 v73, 0xb770, v3
	v_add_f16_e32 v0, v0, v38
	v_add_f16_e32 v76, v84, v1
	;; [unrolled: 1-line block ×3, first 2 shown]
	v_sub_f16_e32 v111, v31, v2
	v_fmamk_f16 v78, v33, 0x3b15, v73
	v_add_f16_e32 v0, v0, v75
	v_sub_f16_e32 v77, v112, v74
	v_mul_f16_e32 v79, 0x3b15, v76
	v_add_f16_e32 v1, v25, v1
	v_add_f16_e32 v25, v29, v78
	v_mul_f16_e32 v78, 0xba95, v3
	v_mul_f16_e32 v80, 0x388b, v76
	;; [unrolled: 1-line block ×10, first 2 shown]
	v_add_f16_e32 v113, v114, v75
	v_mul_f16_e32 v115, 0xba95, v111
	v_add_f16_e32 v2, v31, v2
	v_add_f16_e32 v0, v0, v74
	v_fmamk_f16 v74, v77, 0x3770, v79
	v_fma_f16 v73, v33, 0x3b15, -v73
	v_fmac_f16_e32 v79, 0xb770, v77
	v_fmamk_f16 v81, v33, 0x388b, v78
	v_fmamk_f16 v83, v77, 0x3a95, v80
	v_fma_f16 v78, v33, 0x388b, -v78
	v_fmac_f16_e32 v80, 0xba95, v77
	v_fmamk_f16 v99, v33, 0x2fb7, v84
	;; [unrolled: 4-line block ×5, first 2 shown]
	v_fmamk_f16 v112, v77, 0x33a8, v76
	v_fma_f16 v3, v33, 0xbbc4, -v3
	v_fmac_f16_e32 v76, 0xb3a8, v77
	v_sub_f16_e32 v31, v114, v75
	v_fmamk_f16 v33, v113, 0x388b, v115
	v_mul_f16_e32 v75, 0x388b, v2
	v_add_f16_e32 v74, v71, v74
	v_add_f16_e32 v73, v29, v73
	;; [unrolled: 1-line block ×24, first 2 shown]
	v_fmamk_f16 v33, v31, 0x3a95, v75
	v_mul_f16_e32 v71, 0xbb7b, v111
	v_fma_f16 v76, v113, 0x388b, -v115
	v_fmac_f16_e32 v75, 0xba95, v31
	v_mul_f16_e32 v112, 0xb5ac, v2
	v_add_f16_e32 v33, v33, v74
	v_fmamk_f16 v74, v113, 0xb5ac, v71
	v_add_f16_e32 v73, v76, v73
	v_add_f16_e32 v75, v75, v79
	v_fmamk_f16 v76, v31, 0x3b7b, v112
	v_mul_f16_e32 v79, 0xb3a8, v111
	v_add_f16_e32 v74, v74, v81
	v_fma_f16 v71, v113, 0xb5ac, -v71
	v_fmac_f16_e32 v112, 0xbb7b, v31
	v_add_f16_e32 v76, v76, v83
	v_fmamk_f16 v81, v113, 0xbbc4, v79
	v_mul_f16_e32 v83, 0xbbc4, v2
	v_add_f16_e32 v71, v71, v78
	v_add_f16_e32 v78, v112, v80
	v_mul_f16_e32 v80, 0x394e, v111
	v_add_f16_e32 v81, v81, v99
	v_fmamk_f16 v99, v31, 0x33a8, v83
	v_fmac_f16_e32 v83, 0xb3a8, v31
	v_mul_f16_e32 v114, 0xb9fd, v2
	v_fma_f16 v79, v113, 0xbbc4, -v79
	v_fmamk_f16 v112, v113, 0xb9fd, v80
	v_add_f16_e32 v99, v99, v102
	v_add_f16_e32 v83, v83, v100
	v_fmamk_f16 v100, v31, 0xb94e, v114
	v_mul_f16_e32 v102, 0x3bf1, v111
	v_add_f16_e32 v79, v79, v84
	v_add_f16_e32 v84, v112, v103
	v_fma_f16 v80, v113, 0xb9fd, -v80
	v_mul_f16_e32 v103, 0x2fb7, v2
	v_add_f16_e32 v100, v100, v105
	v_fmamk_f16 v105, v113, 0x2fb7, v102
	v_mul_f16_e32 v111, 0x3770, v111
	v_fma_f16 v102, v113, 0x2fb7, -v102
	v_add_f16_e32 v80, v80, v101
	v_fmamk_f16 v101, v31, 0xbbf1, v103
	v_add_f16_e32 v105, v105, v108
	v_fmac_f16_e32 v103, 0x3bf1, v31
	v_fmamk_f16 v108, v113, 0x3b15, v111
	v_add_f16_e32 v102, v102, v106
	v_sub_f16_e32 v106, v82, v34
	v_add_f16_e32 v101, v101, v109
	v_mul_f16_e32 v2, 0x3b15, v2
	v_add_f16_e32 v103, v103, v107
	v_add_f16_e32 v107, v108, v110
	;; [unrolled: 1-line block ×3, first 2 shown]
	v_mul_f16_e32 v110, 0xbbf1, v106
	v_add_f16_e32 v34, v82, v34
	v_fmac_f16_e32 v114, 0x394e, v31
	v_fmamk_f16 v108, v31, 0xb770, v2
	v_fma_f16 v82, v113, 0x3b15, -v111
	v_fmac_f16_e32 v2, 0x3770, v31
	v_sub_f16_e32 v30, v30, v38
	v_fmamk_f16 v31, v109, 0x2fb7, v110
	v_mul_f16_e32 v38, 0x2fb7, v34
	v_add_f16_e32 v77, v108, v77
	v_add_f16_e32 v3, v82, v3
	;; [unrolled: 1-line block ×4, first 2 shown]
	v_fmamk_f16 v29, v30, 0x3bf1, v38
	v_mul_f16_e32 v31, 0xb3a8, v106
	v_fma_f16 v82, v109, 0x2fb7, -v110
	v_fmac_f16_e32 v38, 0xbbf1, v30
	v_mul_f16_e32 v108, 0xbbc4, v34
	v_add_f16_e32 v29, v29, v33
	v_fmamk_f16 v33, v109, 0xbbc4, v31
	v_add_f16_e32 v73, v82, v73
	v_add_f16_e32 v38, v38, v75
	v_fmamk_f16 v75, v30, 0x33a8, v108
	v_mul_f16_e32 v82, 0x3b7b, v106
	v_fma_f16 v31, v109, 0xbbc4, -v31
	v_fmac_f16_e32 v108, 0xb3a8, v30
	v_add_f16_e32 v33, v33, v74
	v_add_f16_e32 v74, v75, v76
	v_fmamk_f16 v75, v109, 0xb5ac, v82
	v_mul_f16_e32 v76, 0xb5ac, v34
	v_add_f16_e32 v31, v31, v71
	v_add_f16_e32 v71, v108, v78
	v_mul_f16_e32 v78, 0x3770, v106
	v_add_f16_e32 v75, v75, v81
	v_fmamk_f16 v81, v30, 0xbb7b, v76
	v_fma_f16 v82, v109, 0xb5ac, -v82
	v_fmac_f16_e32 v76, 0x3b7b, v30
	v_fmamk_f16 v108, v109, 0x3b15, v78
	v_mul_f16_e32 v110, 0x3b15, v34
	v_add_f16_e32 v81, v81, v99
	v_add_f16_e32 v79, v82, v79
	;; [unrolled: 1-line block ×4, first 2 shown]
	v_fmamk_f16 v83, v30, 0xb770, v110
	v_mul_f16_e32 v84, 0xba95, v106
	v_fma_f16 v78, v109, 0x3b15, -v78
	v_mul_f16_e32 v99, 0x388b, v34
	v_mul_f16_e32 v106, 0xb94e, v106
	v_add_f16_e32 v83, v83, v100
	v_fmamk_f16 v100, v109, 0x388b, v84
	v_add_f16_e32 v78, v78, v80
	v_fmamk_f16 v80, v30, 0x3a95, v99
	v_fma_f16 v84, v109, 0x388b, -v84
	v_fmac_f16_e32 v99, 0xba95, v30
	v_add_f16_e32 v100, v100, v105
	v_mul_f16_e32 v34, 0xb9fd, v34
	v_add_f16_e32 v80, v80, v101
	v_fmamk_f16 v101, v109, 0xb9fd, v106
	v_add_f16_e32 v84, v84, v102
	v_sub_f16_e32 v102, v11, v35
	v_add_f16_e32 v105, v32, v37
	v_add_f16_e32 v11, v11, v35
	;; [unrolled: 1-line block ×3, first 2 shown]
	v_fmac_f16_e32 v110, 0x3770, v30
	v_mul_f16_e32 v107, 0xbb7b, v102
	v_add_f16_e32 v99, v99, v103
	v_fmamk_f16 v103, v30, 0x394e, v34
	v_fmac_f16_e32 v34, 0xb94e, v30
	v_sub_f16_e32 v30, v32, v37
	v_fmamk_f16 v32, v105, 0xb5ac, v107
	v_mul_f16_e32 v37, 0xb5ac, v11
	v_fma_f16 v35, v109, 0xb9fd, -v106
	v_add_f16_e32 v2, v34, v2
	v_mul_f16_e32 v34, 0x394e, v102
	v_add_f16_e32 v25, v32, v25
	v_fmamk_f16 v32, v30, 0x3b7b, v37
	v_add_f16_e32 v77, v103, v77
	v_add_f16_e32 v3, v35, v3
	v_fma_f16 v35, v105, 0xb5ac, -v107
	v_fmac_f16_e32 v37, 0xbb7b, v30
	v_mul_f16_e32 v103, 0xb9fd, v11
	v_add_f16_e32 v29, v32, v29
	v_fmamk_f16 v32, v105, 0xb9fd, v34
	v_add_f16_e32 v35, v35, v73
	v_add_f16_e32 v37, v37, v38
	v_fmamk_f16 v38, v30, 0xb94e, v103
	v_mul_f16_e32 v73, 0x3770, v102
	v_add_f16_e32 v32, v32, v33
	v_fma_f16 v33, v105, 0xb9fd, -v34
	v_fmac_f16_e32 v103, 0x394e, v30
	v_add_f16_e32 v34, v38, v74
	v_fmamk_f16 v38, v105, 0x3b15, v73
	v_mul_f16_e32 v74, 0x3b15, v11
	v_add_f16_e32 v31, v33, v31
	v_add_f16_e32 v33, v103, v71
	v_mul_f16_e32 v71, 0xbbf1, v102
	v_add_f16_e32 v38, v38, v75
	v_fmamk_f16 v75, v30, 0xb770, v74
	v_fma_f16 v73, v105, 0x3b15, -v73
	v_fmac_f16_e32 v74, 0x3770, v30
	v_fmamk_f16 v103, v105, 0x2fb7, v71
	v_mul_f16_e32 v106, 0x2fb7, v11
	v_add_f16_e32 v75, v75, v81
	v_add_f16_e32 v73, v73, v79
	;; [unrolled: 1-line block ×4, first 2 shown]
	v_fmamk_f16 v79, v30, 0x3bf1, v106
	v_mul_f16_e32 v81, 0x33a8, v102
	v_fma_f16 v71, v105, 0x2fb7, -v71
	v_mul_f16_e32 v82, 0xbbc4, v11
	v_mul_f16_e32 v102, 0x3a95, v102
	v_add_f16_e32 v79, v79, v83
	v_fmamk_f16 v83, v105, 0xbbc4, v81
	v_add_f16_e32 v71, v71, v78
	v_fmamk_f16 v78, v30, 0xb3a8, v82
	v_fma_f16 v81, v105, 0xbbc4, -v81
	v_fmac_f16_e32 v82, 0x33a8, v30
	v_add_f16_e32 v83, v83, v100
	v_mul_f16_e32 v11, 0x388b, v11
	v_add_f16_e32 v78, v78, v80
	v_fmamk_f16 v80, v105, 0x388b, v102
	v_add_f16_e32 v81, v81, v84
	v_sub_f16_e32 v84, v10, v7
	v_add_f16_e32 v100, v9, v36
	v_add_f16_e32 v7, v10, v7
	;; [unrolled: 1-line block ×3, first 2 shown]
	v_fmac_f16_e32 v106, 0xbbf1, v30
	v_mul_f16_e32 v101, 0xb94e, v84
	v_add_f16_e32 v82, v82, v99
	v_fmamk_f16 v99, v30, 0xba95, v11
	v_fma_f16 v10, v105, 0x388b, -v102
	v_fmac_f16_e32 v11, 0x3a95, v30
	v_sub_f16_e32 v9, v9, v36
	v_fmamk_f16 v30, v100, 0xb9fd, v101
	v_mul_f16_e32 v36, 0xb9fd, v7
	v_add_f16_e32 v77, v99, v77
	v_add_f16_e32 v3, v10, v3
	;; [unrolled: 1-line block ×4, first 2 shown]
	v_fmamk_f16 v11, v9, 0x394e, v36
	v_mul_f16_e32 v25, 0x3bf1, v84
	v_fma_f16 v30, v100, 0xb9fd, -v101
	v_fmac_f16_e32 v36, 0xb94e, v9
	v_mul_f16_e32 v99, 0x2fb7, v7
	v_add_f16_e32 v11, v11, v29
	v_fmamk_f16 v29, v100, 0x2fb7, v25
	v_add_f16_e32 v30, v30, v35
	v_add_f16_e32 v35, v36, v37
	v_fmamk_f16 v36, v9, 0xbbf1, v99
	v_mul_f16_e32 v37, 0xba95, v84
	v_add_f16_e32 v32, v29, v32
	v_fma_f16 v25, v100, 0x2fb7, -v25
	v_fmac_f16_e32 v99, 0x3bf1, v9
	v_add_f16_e32 v34, v36, v34
	v_fmamk_f16 v29, v100, 0x388b, v37
	v_mul_f16_e32 v36, 0x388b, v7
	v_add_f16_e32 v31, v25, v31
	v_mul_f16_e32 v25, 0x33a8, v84
	v_mul_f16_e32 v101, 0xbbc4, v7
	v_add_f16_e32 v38, v29, v38
	v_fmamk_f16 v29, v9, 0x3a95, v36
	v_fmac_f16_e32 v36, 0xba95, v9
	v_add_f16_e32 v33, v99, v33
	v_fma_f16 v37, v100, 0x388b, -v37
	v_fmamk_f16 v99, v100, 0xbbc4, v25
	v_add_f16_e32 v75, v29, v75
	v_add_f16_e32 v36, v36, v74
	v_fmamk_f16 v29, v9, 0xb3a8, v101
	v_mul_f16_e32 v74, 0x3770, v84
	v_add_f16_e32 v37, v37, v73
	v_add_f16_e32 v73, v99, v76
	v_fma_f16 v25, v100, 0xbbc4, -v25
	v_mul_f16_e32 v76, 0x3b15, v7
	v_add_f16_e32 v79, v29, v79
	v_fmamk_f16 v29, v100, 0x3b15, v74
	v_mul_f16_e32 v84, 0xbb7b, v84
	v_add_f16_e32 v71, v25, v71
	v_fmamk_f16 v25, v9, 0xb770, v76
	v_fmac_f16_e32 v76, 0x3770, v9
	v_add_f16_e32 v83, v29, v83
	v_fma_f16 v29, v100, 0x3b15, -v74
	v_mul_f16_e32 v7, 0xb5ac, v7
	v_add_f16_e32 v74, v25, v78
	v_fmamk_f16 v25, v100, 0xb5ac, v84
	v_add_f16_e32 v76, v76, v82
	v_add_f16_e32 v78, v29, v81
	v_sub_f16_e32 v81, v5, v6
	v_add_f16_e32 v82, v8, v4
	v_add_f16_e32 v5, v5, v6
	v_fmac_f16_e32 v101, 0x33a8, v9
	v_add_f16_e32 v80, v25, v80
	v_mul_f16_e32 v29, 0xb3a8, v81
	v_fmamk_f16 v25, v9, 0x3b7b, v7
	v_fma_f16 v6, v100, 0xb5ac, -v84
	v_fmac_f16_e32 v7, 0xbb7b, v9
	v_sub_f16_e32 v4, v8, v4
	v_fmamk_f16 v8, v82, 0xbbc4, v29
	v_mul_f16_e32 v9, 0xbbc4, v5
	v_add_f16_e32 v3, v6, v3
	v_add_f16_e32 v2, v7, v2
	v_mul_f16_e32 v84, 0x3b15, v5
	v_add_f16_e32 v6, v8, v10
	v_fmamk_f16 v7, v4, 0x33a8, v9
	v_mul_f16_e32 v8, 0x3770, v81
	v_fma_f16 v10, v82, 0xbbc4, -v29
	v_fmac_f16_e32 v9, 0xb3a8, v4
	v_add_f16_e32 v77, v25, v77
	v_add_f16_e32 v7, v7, v11
	v_fmamk_f16 v11, v82, 0x3b15, v8
	v_add_f16_e32 v25, v10, v30
	v_add_f16_e32 v29, v9, v35
	v_fmamk_f16 v9, v4, 0xb770, v84
	v_mul_f16_e32 v10, 0xb94e, v81
	v_fma_f16 v8, v82, 0x3b15, -v8
	v_fmac_f16_e32 v84, 0x3770, v4
	v_add_f16_e32 v11, v11, v32
	v_mul_f16_e32 v32, 0xb9fd, v5
	v_fmamk_f16 v30, v82, 0xb9fd, v10
	v_add_f16_e32 v8, v8, v31
	v_add_f16_e32 v31, v84, v33
	v_mul_f16_e32 v33, 0x3a95, v81
	v_add_f16_e32 v9, v9, v34
	v_add_f16_e32 v30, v30, v38
	v_fmamk_f16 v34, v4, 0x394e, v32
	v_fma_f16 v10, v82, 0xb9fd, -v10
	v_fmac_f16_e32 v32, 0xb94e, v4
	v_fmamk_f16 v35, v82, 0x388b, v33
	v_mul_f16_e32 v38, 0x388b, v5
	v_add_f16_e32 v104, v114, v104
	v_add_f16_e32 v10, v10, v37
	;; [unrolled: 1-line block ×4, first 2 shown]
	v_fmamk_f16 v36, v4, 0xba95, v38
	v_mul_f16_e32 v37, 0xbb7b, v81
	v_fma_f16 v33, v82, 0x388b, -v33
	v_mul_f16_e32 v73, 0xb5ac, v5
	v_add_f16_e32 v104, v110, v104
	v_add_f16_e32 v34, v34, v75
	;; [unrolled: 1-line block ×3, first 2 shown]
	v_fmamk_f16 v75, v82, 0xb5ac, v37
	v_add_f16_e32 v33, v33, v71
	v_fmamk_f16 v71, v4, 0x3b7b, v73
	v_fma_f16 v37, v82, 0xb5ac, -v37
	v_mul_f16_e32 v79, 0x3bf1, v81
	v_mul_f16_e32 v5, 0x2fb7, v5
	v_add_f16_e32 v103, v106, v104
	v_add_f16_e32 v71, v71, v74
	;; [unrolled: 1-line block ×3, first 2 shown]
	v_fmac_f16_e32 v73, 0xbb7b, v4
	v_fmamk_f16 v74, v82, 0x2fb7, v79
	v_fmamk_f16 v78, v4, 0xbbf1, v5
	v_fma_f16 v79, v82, 0x2fb7, -v79
	v_fmac_f16_e32 v5, 0x3bf1, v4
	v_add_f16_e32 v99, v101, v103
	v_fmac_f16_e32 v38, 0x3a95, v4
	v_add_f16_e32 v75, v75, v83
	v_pack_b32_f16 v0, v0, v1
	v_pack_b32_f16 v1, v6, v7
	v_add_f16_e32 v4, v73, v76
	v_add_f16_e32 v73, v74, v80
	;; [unrolled: 1-line block ×5, first 2 shown]
	v_pack_b32_f16 v5, v11, v9
	v_pack_b32_f16 v6, v30, v34
	v_add_f16_e32 v38, v38, v99
	ds_store_2addr_b32 v85, v0, v1 offset1:13
	ds_store_2addr_b32 v85, v5, v6 offset0:26 offset1:39
	v_pack_b32_f16 v0, v35, v36
	v_pack_b32_f16 v1, v75, v71
	;; [unrolled: 1-line block ×9, first 2 shown]
	ds_store_2addr_b32 v85, v0, v1 offset0:52 offset1:65
	ds_store_2addr_b32 v85, v5, v2 offset0:78 offset1:91
	;; [unrolled: 1-line block ×4, first 2 shown]
	ds_store_b32 v85, v8 offset:624
	global_wb scope:SCOPE_SE
	s_wait_dscnt 0x0
	s_barrier_signal -1
	s_barrier_wait -1
	global_inv scope:SCOPE_SE
	ds_load_2addr_b32 v[2:3], v43 offset1:52
	ds_load_2addr_b32 v[0:1], v43 offset0:104 offset1:169
	ds_load_2addr_b32 v[10:11], v98 offset0:82 offset1:134
	;; [unrolled: 1-line block ×5, first 2 shown]
	s_and_saveexec_b32 s0, vcc_lo
	s_cbranch_execz .LBB0_7
; %bb.6:
	v_add_nc_u32_e32 v27, 0x700, v43
	ds_load_2addr_b32 v[25:26], v72 offset0:28 offset1:197
	ds_load_2addr_b32 v[27:28], v27 offset0:46 offset1:215
	s_wait_dscnt 0x1
	v_lshrrev_b32_e32 v29, 16, v25
	v_lshrrev_b32_e32 v96, 16, v26
	s_wait_dscnt 0x0
	v_lshrrev_b32_e32 v95, 16, v27
	v_lshrrev_b32_e32 v42, 16, v28
.LBB0_7:
	s_wait_alu 0xfffe
	s_or_b32 exec_lo, exec_lo, s0
	s_wait_dscnt 0x4
	v_lshrrev_b32_e32 v31, 16, v1
	s_wait_dscnt 0x3
	v_lshrrev_b32_e32 v32, 16, v10
	;; [unrolled: 2-line block ×4, first 2 shown]
	v_lshrrev_b32_e32 v36, 16, v11
	v_mul_f16_e32 v38, v94, v31
	v_mul_f16_e32 v76, v93, v32
	;; [unrolled: 1-line block ×5, first 2 shown]
	v_fmac_f16_e32 v38, v21, v1
	v_mul_f16_e32 v1, v94, v1
	s_wait_dscnt 0x0
	v_lshrrev_b32_e32 v37, 16, v4
	v_lshrrev_b32_e32 v73, 16, v9
	;; [unrolled: 1-line block ×3, first 2 shown]
	v_fmac_f16_e32 v76, v22, v10
	v_fma_f16 v1, v21, v31, -v1
	v_fma_f16 v10, v22, v32, -v77
	v_fmac_f16_e32 v78, v23, v7
	v_fma_f16 v7, v23, v33, -v79
	v_mul_f16_e32 v21, v91, v35
	v_mul_f16_e32 v22, v91, v8
	;; [unrolled: 1-line block ×5, first 2 shown]
	v_fmac_f16_e32 v21, v18, v8
	v_fma_f16 v8, v18, v35, -v22
	v_fmac_f16_e32 v23, v19, v11
	v_fma_f16 v11, v19, v36, -v31
	v_mul_f16_e32 v18, v88, v73
	v_mul_f16_e32 v19, v88, v9
	;; [unrolled: 1-line block ×4, first 2 shown]
	v_lshrrev_b32_e32 v75, 16, v5
	v_fmac_f16_e32 v32, v20, v4
	v_mul_f16_e32 v4, v89, v4
	v_fmac_f16_e32 v18, v15, v9
	v_fma_f16 v9, v15, v73, -v19
	v_fmac_f16_e32 v22, v16, v6
	v_fma_f16 v6, v16, v74, -v31
	v_sub_f16_e32 v15, v2, v76
	v_sub_f16_e32 v16, v38, v78
	v_mul_f16_e32 v19, v86, v75
	v_mul_f16_e32 v31, v86, v5
	v_lshrrev_b32_e32 v30, 16, v2
	v_lshrrev_b32_e32 v34, 16, v3
	v_fma_f16 v4, v20, v37, -v4
	v_fma_f16 v2, v2, 2.0, -v15
	v_fma_f16 v20, v38, 2.0, -v16
	v_lshrrev_b32_e32 v71, 16, v0
	v_fmac_f16_e32 v19, v17, v5
	v_fma_f16 v17, v17, v75, -v31
	v_sub_f16_e32 v10, v30, v10
	v_sub_f16_e32 v7, v1, v7
	;; [unrolled: 1-line block ×11, first 2 shown]
	v_fma_f16 v30, v30, 2.0, -v10
	v_fma_f16 v1, v1, 2.0, -v7
	;; [unrolled: 1-line block ×6, first 2 shown]
	v_add_f16_e32 v7, v15, v7
	v_sub_f16_e32 v16, v10, v16
	v_fma_f16 v0, v0, 2.0, -v22
	v_fma_f16 v32, v71, 2.0, -v6
	;; [unrolled: 1-line block ×4, first 2 shown]
	v_sub_f16_e32 v1, v30, v1
	v_sub_f16_e32 v21, v3, v21
	;; [unrolled: 1-line block ×3, first 2 shown]
	v_fma_f16 v15, v15, 2.0, -v7
	v_fma_f16 v10, v10, 2.0, -v16
	v_sub_f16_e32 v18, v0, v18
	v_sub_f16_e32 v9, v32, v9
	v_add_f16_e32 v4, v20, v4
	v_sub_f16_e32 v23, v11, v23
	v_add_f16_e32 v17, v22, v17
	v_sub_f16_e32 v19, v6, v19
	v_fma_f16 v2, v2, 2.0, -v5
	v_fma_f16 v30, v30, 2.0, -v1
	;; [unrolled: 1-line block ×4, first 2 shown]
	v_pack_b32_f16 v10, v15, v10
	v_fma_f16 v0, v0, 2.0, -v18
	v_fma_f16 v32, v32, 2.0, -v9
	v_pack_b32_f16 v1, v5, v1
	v_fma_f16 v20, v20, 2.0, -v4
	v_fma_f16 v11, v11, 2.0, -v23
	;; [unrolled: 1-line block ×4, first 2 shown]
	v_pack_b32_f16 v5, v7, v16
	v_pack_b32_f16 v2, v2, v30
	;; [unrolled: 1-line block ×4, first 2 shown]
	ds_store_b32 v43, v10 offset:676
	ds_store_b32 v43, v1 offset:1352
	;; [unrolled: 1-line block ×3, first 2 shown]
	ds_store_2addr_b32 v43, v2, v3 offset1:52
	v_pack_b32_f16 v2, v21, v8
	v_pack_b32_f16 v0, v0, v32
	;; [unrolled: 1-line block ×4, first 2 shown]
	ds_store_b32 v43, v4 offset:2236
	v_pack_b32_f16 v4, v18, v9
	v_pack_b32_f16 v5, v17, v19
	ds_store_b32 v43, v2 offset:1560
	ds_store_b32 v43, v0 offset:416
	ds_store_2addr_b32 v72, v1, v3 offset0:93 offset1:145
	ds_store_b32 v43, v4 offset:1768
	ds_store_b32 v43, v5 offset:2444
	s_and_saveexec_b32 s0, vcc_lo
	s_cbranch_execz .LBB0_9
; %bb.8:
	v_mul_f16_e32 v0, v41, v95
	v_mul_f16_e32 v1, v40, v26
	;; [unrolled: 1-line block ×6, first 2 shown]
	v_fmac_f16_e32 v0, v13, v27
	v_fma_f16 v1, v12, v96, -v1
	v_fmac_f16_e32 v3, v12, v26
	v_fmac_f16_e32 v4, v14, v28
	v_fma_f16 v2, v13, v95, -v2
	v_fma_f16 v5, v14, v42, -v5
	v_sub_f16_e32 v0, v25, v0
	v_add_nc_u32_e32 v8, 0x200, v43
	v_sub_f16_e32 v4, v3, v4
	v_sub_f16_e32 v2, v29, v2
	;; [unrolled: 1-line block ×3, first 2 shown]
	v_fma_f16 v6, v25, 2.0, -v0
	s_delay_alu instid0(VALU_DEP_4) | instskip(NEXT) | instid1(VALU_DEP_4)
	v_fma_f16 v3, v3, 2.0, -v4
	v_fma_f16 v7, v29, 2.0, -v2
	s_delay_alu instid0(VALU_DEP_4) | instskip(SKIP_3) | instid1(VALU_DEP_4)
	v_fma_f16 v1, v1, 2.0, -v5
	v_add_f16_e32 v5, v0, v5
	v_sub_f16_e32 v4, v2, v4
	v_sub_f16_e32 v3, v6, v3
	v_sub_f16_e32 v1, v7, v1
	s_delay_alu instid0(VALU_DEP_4) | instskip(NEXT) | instid1(VALU_DEP_4)
	v_fma_f16 v0, v0, 2.0, -v5
	v_fma_f16 v2, v2, 2.0, -v4
	s_delay_alu instid0(VALU_DEP_4)
	v_fma_f16 v6, v6, 2.0, -v3
	v_pack_b32_f16 v4, v5, v4
	v_fma_f16 v7, v7, 2.0, -v1
	v_add_nc_u32_e32 v5, 0x700, v43
	v_pack_b32_f16 v0, v0, v2
	v_pack_b32_f16 v1, v3, v1
	s_delay_alu instid0(VALU_DEP_4)
	v_pack_b32_f16 v2, v6, v7
	ds_store_2addr_b32 v8, v2, v0 offset0:28 offset1:197
	ds_store_2addr_b32 v5, v1, v4 offset0:46 offset1:215
.LBB0_9:
	s_wait_alu 0xfffe
	s_or_b32 exec_lo, exec_lo, s0
	global_wb scope:SCOPE_SE
	s_wait_dscnt 0x0
	s_barrier_signal -1
	s_barrier_wait -1
	global_inv scope:SCOPE_SE
	ds_load_2addr_b32 v[0:1], v43 offset1:52
	ds_load_2addr_b32 v[2:3], v43 offset0:104 offset1:156
	s_mov_b32 s8, 0x7ab2bedd
	s_mov_b32 s9, 0x3f583c97
	v_mad_co_u64_u32 v[16:17], null, s4, v63, 0
	s_wait_dscnt 0x1
	v_lshrrev_b32_e32 v4, 16, v0
	v_mul_f16_e32 v5, v70, v0
	v_lshrrev_b32_e32 v6, 16, v1
	v_mul_f16_e32 v7, v69, v1
	s_wait_dscnt 0x0
	v_lshrrev_b32_e32 v12, 16, v2
	v_mul_f16_e32 v8, v70, v4
	v_fma_f16 v5, v66, v4, -v5
	v_mul_f16_e32 v9, v69, v6
	v_fma_f16 v4, v67, v6, -v7
	v_mul_f16_e32 v10, v68, v12
	v_fmac_f16_e32 v8, v66, v0
	v_cvt_f32_f16_e32 v5, v5
	v_fmac_f16_e32 v9, v67, v1
	v_cvt_f32_f16_e32 v0, v4
	v_fmac_f16_e32 v10, v65, v2
	v_cvt_f32_f16_e32 v8, v8
	v_cvt_f64_f32_e32 v[4:5], v5
	v_mul_f16_e32 v2, v68, v2
	v_cvt_f64_f32_e32 v[6:7], v0
	v_cvt_f32_f16_e32 v10, v10
	v_cvt_f64_f32_e32 v[0:1], v8
	v_cvt_f32_f16_e32 v8, v9
	v_fma_f16 v2, v65, v12, -v2
	v_mad_co_u64_u32 v[12:13], null, s6, v24, 0
	v_cvt_f64_f32_e32 v[10:11], v10
	s_delay_alu instid0(VALU_DEP_4) | instskip(NEXT) | instid1(VALU_DEP_4)
	v_cvt_f64_f32_e32 v[8:9], v8
	v_cvt_f32_f16_e32 v2, v2
	s_delay_alu instid0(VALU_DEP_1) | instskip(SKIP_1) | instid1(VALU_DEP_1)
	v_cvt_f64_f32_e32 v[14:15], v2
	v_mov_b32_e32 v2, v13
	v_mad_co_u64_u32 v[18:19], null, s7, v24, v[2:3]
	v_mov_b32_e32 v2, v17
	s_delay_alu instid0(VALU_DEP_1) | instskip(NEXT) | instid1(VALU_DEP_3)
	v_mad_co_u64_u32 v[19:20], null, s5, v63, v[2:3]
	v_mov_b32_e32 v13, v18
	v_lshrrev_b32_e32 v20, 16, v3
	s_delay_alu instid0(VALU_DEP_2) | instskip(NEXT) | instid1(VALU_DEP_4)
	v_lshlrev_b64_e32 v[12:13], 2, v[12:13]
	v_mov_b32_e32 v17, v19
	s_wait_alu 0xfffe
	v_mul_f64_e32 v[4:5], s[8:9], v[4:5]
	v_mul_f16_e32 v2, v64, v20
	v_mul_f64_e32 v[6:7], s[8:9], v[6:7]
	v_mul_f64_e32 v[0:1], s[8:9], v[0:1]
	v_add_co_u32 v18, vcc_lo, s2, v12
	s_wait_alu 0xfffd
	v_add_co_ci_u32_e32 v19, vcc_lo, s3, v13, vcc_lo
	v_mul_f64_e32 v[10:11], s[8:9], v[10:11]
	v_mul_f64_e32 v[8:9], s[8:9], v[8:9]
	v_fmac_f16_e32 v2, v61, v3
	v_mul_f64_e32 v[12:13], s[8:9], v[14:15]
	s_delay_alu instid0(VALU_DEP_2)
	v_cvt_f32_f16_e32 v2, v2
	v_and_or_b32 v4, 0x1ff, v5, v4
	v_lshrrev_b32_e32 v14, 8, v5
	v_and_or_b32 v6, 0x1ff, v7, v6
	v_bfe_u32 v15, v5, 20, 11
	v_and_or_b32 v0, 0x1ff, v1, v0
	v_cmp_ne_u32_e32 vcc_lo, 0, v4
	v_lshrrev_b32_e32 v21, 8, v7
	v_bfe_u32 v24, v1, 20, 11
	v_bfe_u32 v22, v7, 20, 11
	v_and_or_b32 v10, 0x1ff, v11, v10
	s_wait_alu 0xfffd
	v_cndmask_b32_e64 v4, 0, 1, vcc_lo
	v_cmp_ne_u32_e32 vcc_lo, 0, v6
	v_and_or_b32 v8, 0x1ff, v9, v8
	v_lshrrev_b32_e32 v23, 8, v1
	v_sub_nc_u32_e32 v25, 0x3f1, v15
	v_and_or_b32 v4, 0xffe, v14, v4
	s_wait_alu 0xfffd
	v_cndmask_b32_e64 v6, 0, 1, vcc_lo
	v_cmp_ne_u32_e32 vcc_lo, 0, v0
	v_add_nc_u32_e32 v15, 0xfffffc10, v15
	v_sub_nc_u32_e32 v31, 0x3f1, v24
	v_lshrrev_b32_e32 v26, 8, v9
	v_and_or_b32 v6, 0xffe, v21, v6
	s_wait_alu 0xfffd
	v_cndmask_b32_e64 v0, 0, 1, vcc_lo
	v_cmp_ne_u32_e32 vcc_lo, 0, v8
	v_bfe_u32 v27, v9, 20, 11
	v_sub_nc_u32_e32 v28, 0x3f1, v22
	v_add_nc_u32_e32 v22, 0xfffffc10, v22
	v_med3_i32 v14, v25, 0, 13
	s_wait_alu 0xfffd
	v_cndmask_b32_e64 v8, 0, 1, vcc_lo
	v_cmp_ne_u32_e32 vcc_lo, 0, v10
	v_and_or_b32 v0, 0xffe, v23, v0
	v_med3_i32 v23, v31, 0, 13
	v_or_b32_e32 v31, 0x1000, v4
	v_lshl_or_b32 v32, v15, 12, v4
	s_wait_alu 0xfffd
	v_cndmask_b32_e64 v10, 0, 1, vcc_lo
	v_cmp_ne_u32_e32 vcc_lo, 0, v4
	v_lshrrev_b32_e32 v29, 8, v11
	v_add_nc_u32_e32 v24, 0xfffffc10, v24
	v_sub_nc_u32_e32 v25, 0x3f1, v27
	v_add_nc_u32_e32 v27, 0xfffffc10, v27
	s_wait_alu 0xfffd
	v_cndmask_b32_e64 v4, 0, 1, vcc_lo
	v_cmp_ne_u32_e32 vcc_lo, 0, v6
	v_med3_i32 v21, v28, 0, 13
	v_and_or_b32 v8, 0xffe, v26, v8
	v_or_b32_e32 v26, 0x1000, v6
	v_lshl_or_b32 v33, v22, 12, v6
	s_wait_alu 0xfffd
	v_cndmask_b32_e64 v6, 0, 1, vcc_lo
	v_cmp_ne_u32_e32 vcc_lo, 0, v0
	v_lshrrev_b32_e32 v35, v14, v31
	v_and_or_b32 v10, 0xffe, v29, v10
	v_or_b32_e32 v29, 0x1000, v0
	v_lshl_or_b32 v34, v24, 12, v0
	s_wait_alu 0xfffd
	v_cndmask_b32_e64 v0, 0, 1, vcc_lo
	v_lshl_or_b32 v37, v27, 12, v8
	v_cmp_ne_u32_e32 vcc_lo, 0, v8
	v_lshrrev_b32_e32 v38, v21, v26
	v_lshlrev_b32_e32 v14, v14, v35
	v_med3_i32 v25, v25, 0, 13
	v_or_b32_e32 v36, 0x1000, v8
	s_wait_alu 0xfffd
	v_cndmask_b32_e64 v8, 0, 1, vcc_lo
	v_lshrrev_b32_e32 v39, v23, v29
	v_lshlrev_b32_e32 v21, v21, v38
	v_cmp_ne_u32_e32 vcc_lo, v14, v31
	v_lshrrev_b32_e32 v40, v25, v36
	v_lshl_or_b32 v0, v0, 9, 0x7c00
	v_lshlrev_b32_e32 v23, v23, v39
	v_lshl_or_b32 v4, v4, 9, 0x7c00
	s_wait_alu 0xfffd
	v_cndmask_b32_e64 v14, 0, 1, vcc_lo
	v_cmp_ne_u32_e32 vcc_lo, v21, v26
	v_lshlrev_b32_e32 v25, v25, v40
	v_lshrrev_b32_e32 v1, 16, v1
	v_lshrrev_b32_e32 v5, 16, v5
	v_or_b32_e32 v14, v35, v14
	s_wait_alu 0xfffd
	v_cndmask_b32_e64 v21, 0, 1, vcc_lo
	v_cmp_ne_u32_e32 vcc_lo, v23, v29
	v_bfe_u32 v30, v11, 20, 11
	v_lshl_or_b32 v8, v8, 9, 0x7c00
	v_lshrrev_b32_e32 v7, 16, v7
	v_or_b32_e32 v21, v38, v21
	s_wait_alu 0xfffd
	v_cndmask_b32_e64 v23, 0, 1, vcc_lo
	v_cmp_ne_u32_e32 vcc_lo, v25, v36
	v_sub_nc_u32_e32 v28, 0x3f1, v30
	v_lshrrev_b32_e32 v9, 16, v9
	v_lshrrev_b32_e32 v11, 16, v11
	v_or_b32_e32 v23, v39, v23
	s_wait_alu 0xfffd
	v_cndmask_b32_e64 v25, 0, 1, vcc_lo
	v_cmp_gt_i32_e32 vcc_lo, 1, v15
	s_delay_alu instid0(VALU_DEP_2)
	v_or_b32_e32 v25, v40, v25
	s_wait_alu 0xfffd
	v_cndmask_b32_e32 v14, v32, v14, vcc_lo
	v_cmp_gt_i32_e32 vcc_lo, 1, v22
	s_wait_alu 0xfffd
	v_cndmask_b32_e32 v21, v33, v21, vcc_lo
	v_cmp_gt_i32_e32 vcc_lo, 1, v24
	s_delay_alu instid0(VALU_DEP_2)
	v_and_b32_e32 v31, 7, v21
	s_wait_alu 0xfffd
	v_cndmask_b32_e32 v23, v34, v23, vcc_lo
	v_cmp_gt_i32_e32 vcc_lo, 1, v27
	v_lshrrev_b32_e32 v21, 2, v21
	v_cmp_lt_i32_e64 s3, 5, v31
	s_delay_alu instid0(VALU_DEP_4) | instskip(SKIP_3) | instid1(VALU_DEP_3)
	v_and_b32_e32 v29, 7, v23
	v_lshrrev_b32_e32 v23, 2, v23
	s_wait_alu 0xfffd
	v_cndmask_b32_e32 v25, v37, v25, vcc_lo
	v_cmp_lt_i32_e64 s0, 5, v29
	v_cmp_eq_u32_e64 s1, 3, v29
	s_delay_alu instid0(VALU_DEP_1)
	s_or_b32 s0, s1, s0
	v_cmp_eq_u32_e64 s1, 3, v31
	s_wait_alu 0xfffe
	v_add_co_ci_u32_e64 v23, s0, 0, v23, s0
	v_and_b32_e32 v26, 7, v14
	v_lshrrev_b32_e32 v14, 2, v14
	v_cmp_gt_i32_e64 s0, 31, v15
	s_delay_alu instid0(VALU_DEP_3) | instskip(SKIP_3) | instid1(VALU_DEP_3)
	v_cmp_lt_i32_e32 vcc_lo, 5, v26
	v_cmp_eq_u32_e64 s2, 3, v26
	v_and_b32_e32 v26, 7, v25
	v_lshrrev_b32_e32 v25, 2, v25
	s_or_b32 vcc_lo, s2, vcc_lo
	v_cmp_eq_u32_e64 s2, 0x40f, v15
	s_wait_alu 0xfffe
	v_add_co_ci_u32_e32 v14, vcc_lo, 0, v14, vcc_lo
	v_cmp_gt_i32_e32 vcc_lo, 31, v24
	s_delay_alu instid0(VALU_DEP_2)
	v_cndmask_b32_e64 v14, 0x7c00, v14, s0
	v_cmp_eq_u32_e64 s0, 0x40f, v24
	s_wait_alu 0xfffd
	v_cndmask_b32_e32 v23, 0x7c00, v23, vcc_lo
	v_cmp_lt_i32_e32 vcc_lo, 5, v26
	s_wait_alu 0xf1ff
	v_cndmask_b32_e64 v4, v14, v4, s2
	s_delay_alu instid0(VALU_DEP_3) | instskip(SKIP_1) | instid1(VALU_DEP_3)
	v_cndmask_b32_e64 v0, v23, v0, s0
	v_cmp_eq_u32_e64 s0, 3, v26
	v_and_or_b32 v4, 0x8000, v5, v4
	s_delay_alu instid0(VALU_DEP_3) | instskip(NEXT) | instid1(VALU_DEP_3)
	v_and_or_b32 v0, 0x8000, v1, v0
	s_or_b32 vcc_lo, s0, vcc_lo
	s_wait_alu 0xfffe
	v_add_co_ci_u32_e32 v1, vcc_lo, 0, v25, vcc_lo
	s_or_b32 vcc_lo, s1, s3
	v_and_b32_e32 v0, 0xffff, v0
	s_wait_alu 0xfffe
	v_add_co_ci_u32_e32 v5, vcc_lo, 0, v21, vcc_lo
	v_cmp_gt_i32_e32 vcc_lo, 31, v27
	s_mul_u64 s[2:3], s[4:5], 0xd0
	v_lshl_or_b32 v21, v4, 16, v0
	s_wait_alu 0xfffd
	v_cndmask_b32_e32 v14, 0x7c00, v1, vcc_lo
	v_cmp_gt_i32_e32 vcc_lo, 31, v22
	v_cvt_f64_f32_e32 v[0:1], v2
	v_lshl_or_b32 v2, v6, 9, 0x7c00
	v_med3_i32 v6, v28, 0, 13
	s_wait_alu 0xfffd
	v_cndmask_b32_e32 v4, 0x7c00, v5, vcc_lo
	v_or_b32_e32 v5, 0x1000, v10
	v_cmp_eq_u32_e32 vcc_lo, 0x40f, v27
	s_wait_alu 0xfffd
	v_cndmask_b32_e32 v8, v14, v8, vcc_lo
	v_cmp_eq_u32_e32 vcc_lo, 0x40f, v22
	v_lshrrev_b32_e32 v14, v6, v5
	s_delay_alu instid0(VALU_DEP_3) | instskip(SKIP_2) | instid1(VALU_DEP_3)
	v_and_or_b32 v8, 0x8000, v9, v8
	s_wait_alu 0xfffd
	v_cndmask_b32_e32 v4, v4, v2, vcc_lo
	v_lshlrev_b32_e32 v6, v6, v14
	v_mul_f16_e32 v9, v64, v3
	v_lshlrev_b64_e32 v[2:3], 2, v[16:17]
	v_bfe_u32 v16, v13, 20, 11
	v_and_or_b32 v15, 0x8000, v7, v4
	v_and_or_b32 v7, 0x1ff, v13, v12
	v_cmp_ne_u32_e32 vcc_lo, v6, v5
	v_add_nc_u32_e32 v12, 0xfffffc10, v30
	v_fma_f16 v4, v61, v20, -v9
	v_lshrrev_b32_e32 v9, 8, v13
	v_and_b32_e32 v8, 0xffff, v8
	s_wait_alu 0xfffd
	v_cndmask_b32_e64 v6, 0, 1, vcc_lo
	v_cmp_ne_u32_e32 vcc_lo, 0, v7
	v_lshl_or_b32 v20, v12, 12, v10
	v_cvt_f32_f16_e32 v4, v4
	v_lshrrev_b32_e32 v13, 16, v13
	v_or_b32_e32 v14, v14, v6
	s_wait_alu 0xfffd
	v_cndmask_b32_e64 v7, 0, 1, vcc_lo
	v_cmp_gt_i32_e32 vcc_lo, 1, v12
	v_cvt_f64_f32_e32 v[4:5], v4
	v_mul_f64_e32 v[0:1], s[8:9], v[0:1]
	s_delay_alu instid0(VALU_DEP_4)
	v_and_or_b32 v22, 0xffe, v9, v7
	s_wait_alu 0xfffd
	v_cndmask_b32_e32 v14, v20, v14, vcc_lo
	v_add_co_u32 v2, vcc_lo, v18, v2
	v_sub_nc_u32_e32 v9, 0x3f1, v16
	s_wait_alu 0xfffd
	v_add_co_ci_u32_e32 v3, vcc_lo, v19, v3, vcc_lo
	v_lshl_or_b32 v18, v15, 16, v8
	v_and_b32_e32 v15, 7, v14
	s_wait_alu 0xfffe
	v_add_co_u32 v8, vcc_lo, v2, s2
	v_med3_i32 v20, v9, 0, 13
	s_wait_alu 0xfffd
	v_add_co_ci_u32_e32 v9, vcc_lo, s3, v3, vcc_lo
	v_cmp_lt_i32_e32 vcc_lo, 5, v15
	v_cmp_eq_u32_e64 s0, 3, v15
	v_lshrrev_b32_e32 v14, 2, v14
	v_add_nc_u32_e32 v16, 0xfffffc10, v16
	s_delay_alu instid0(VALU_DEP_3) | instskip(SKIP_1) | instid1(VALU_DEP_2)
	s_or_b32 vcc_lo, s0, vcc_lo
	s_wait_alu 0xfffe
	v_add_co_ci_u32_e32 v14, vcc_lo, 0, v14, vcc_lo
	v_cmp_ne_u32_e32 vcc_lo, 0, v10
	s_wait_alu 0xfffd
	v_cndmask_b32_e64 v10, 0, 1, vcc_lo
	v_cmp_gt_i32_e32 vcc_lo, 1, v16
	s_delay_alu instid0(VALU_DEP_2)
	v_lshl_or_b32 v10, v10, 9, 0x7c00
	v_add_nc_u32_e32 v17, 0x200, v43
	v_mul_f64_e32 v[4:5], s[8:9], v[4:5]
	v_and_or_b32 v0, 0x1ff, v1, v0
	ds_load_2addr_b32 v[6:7], v17 offset0:80 offset1:132
	v_or_b32_e32 v17, 0x1000, v22
	v_cmp_ne_u32_e64 s0, 0, v0
	s_clause 0x1
	global_store_b32 v[2:3], v21, off
	global_store_b32 v[8:9], v18, off
	v_lshrrev_b32_e32 v19, v20, v17
	s_wait_alu 0xf1ff
	v_cndmask_b32_e64 v0, 0, 1, s0
	s_delay_alu instid0(VALU_DEP_2) | instskip(NEXT) | instid1(VALU_DEP_1)
	v_lshlrev_b32_e32 v20, v20, v19
	v_cmp_ne_u32_e64 s1, v20, v17
	s_wait_dscnt 0x0
	v_lshrrev_b32_e32 v23, 16, v6
	s_wait_alu 0xf1ff
	s_delay_alu instid0(VALU_DEP_2) | instskip(NEXT) | instid1(VALU_DEP_2)
	v_cndmask_b32_e64 v15, 0, 1, s1
	v_mul_f16_e32 v17, v62, v23
	s_delay_alu instid0(VALU_DEP_2) | instskip(SKIP_1) | instid1(VALU_DEP_3)
	v_or_b32_e32 v15, v19, v15
	v_lshl_or_b32 v19, v16, 12, v22
	v_fmac_f16_e32 v17, v59, v6
	v_mul_f16_e32 v6, v62, v6
	s_wait_alu 0xfffd
	s_delay_alu instid0(VALU_DEP_3)
	v_cndmask_b32_e32 v19, v19, v15, vcc_lo
	v_cmp_gt_i32_e32 vcc_lo, 31, v12
	v_and_or_b32 v4, 0x1ff, v5, v4
	v_cvt_f32_f16_e32 v17, v17
	v_fma_f16 v6, v59, v23, -v6
	v_lshrrev_b32_e32 v23, 8, v5
	s_wait_alu 0xfffd
	v_cndmask_b32_e32 v20, 0x7c00, v14, vcc_lo
	v_cmp_eq_u32_e32 vcc_lo, 0x40f, v12
	v_cvt_f64_f32_e32 v[14:15], v17
	v_and_b32_e32 v17, 7, v19
	v_lshrrev_b32_e32 v12, 8, v1
	v_cvt_f32_f16_e32 v6, v6
	s_wait_alu 0xfffd
	v_cndmask_b32_e32 v10, v20, v10, vcc_lo
	v_bfe_u32 v20, v1, 20, 11
	v_cmp_lt_i32_e32 vcc_lo, 5, v17
	v_cmp_eq_u32_e64 s0, 3, v17
	v_and_or_b32 v0, 0xffe, v12, v0
	v_and_or_b32 v17, 0x8000, v11, v10
	v_lshrrev_b32_e32 v10, 2, v19
	v_sub_nc_u32_e32 v11, 0x3f1, v20
	s_or_b32 vcc_lo, s0, vcc_lo
	v_or_b32_e32 v19, 0x1000, v0
	v_bfe_u32 v24, v5, 20, 11
	s_wait_alu 0xfffe
	v_add_co_ci_u32_e32 v10, vcc_lo, 0, v10, vcc_lo
	v_cmp_ne_u32_e32 vcc_lo, 0, v22
	v_med3_i32 v11, v11, 0, 13
	v_lshrrev_b32_e32 v5, 16, v5
	s_wait_alu 0xfffd
	v_cndmask_b32_e64 v12, 0, 1, vcc_lo
	v_cmp_gt_i32_e32 vcc_lo, 31, v16
	v_lshrrev_b32_e32 v22, v11, v19
	s_delay_alu instid0(VALU_DEP_3)
	v_lshl_or_b32 v12, v12, 9, 0x7c00
	s_wait_alu 0xfffd
	v_cndmask_b32_e32 v10, 0x7c00, v10, vcc_lo
	v_cmp_eq_u32_e32 vcc_lo, 0x40f, v16
	v_lshlrev_b32_e32 v16, v11, v22
	s_wait_alu 0xfffd
	s_delay_alu instid0(VALU_DEP_3)
	v_cndmask_b32_e32 v12, v10, v12, vcc_lo
	v_cmp_ne_u32_e32 vcc_lo, 0, v4
	v_mul_f64_e32 v[10:11], s[8:9], v[14:15]
	v_cvt_f64_f32_e32 v[14:15], v6
	s_wait_alu 0xfffd
	v_cndmask_b32_e64 v4, 0, 1, vcc_lo
	v_cmp_ne_u32_e32 vcc_lo, v16, v19
	v_add_nc_u32_e32 v16, 0xfffffc10, v20
	v_and_or_b32 v12, 0x8000, v13, v12
	v_sub_nc_u32_e32 v19, 0x3f1, v24
	v_and_or_b32 v4, 0xffe, v23, v4
	s_wait_alu 0xfffd
	v_cndmask_b32_e64 v6, 0, 1, vcc_lo
	v_lshl_or_b32 v20, v16, 12, v0
	v_cmp_gt_i32_e32 vcc_lo, 1, v16
	v_med3_i32 v19, v19, 0, 13
	s_delay_alu instid0(VALU_DEP_4) | instskip(SKIP_3) | instid1(VALU_DEP_3)
	v_or_b32_e32 v6, v22, v6
	v_and_b32_e32 v13, 0xffff, v17
	v_or_b32_e32 v22, 0x1000, v4
	s_wait_alu 0xfffd
	v_cndmask_b32_e32 v6, v20, v6, vcc_lo
	s_delay_alu instid0(VALU_DEP_3)
	v_lshl_or_b32 v18, v12, 16, v13
	v_add_co_u32 v2, vcc_lo, v8, s2
	s_wait_alu 0xfffd
	v_add_co_ci_u32_e32 v3, vcc_lo, s3, v9, vcc_lo
	v_and_b32_e32 v12, 7, v6
	v_lshrrev_b32_e32 v17, v19, v22
	v_lshrrev_b32_e32 v6, 2, v6
	v_add_nc_u32_e32 v20, 0xfffffc10, v24
	global_store_b32 v[2:3], v18, off
	v_cmp_lt_i32_e32 vcc_lo, 5, v12
	v_cmp_eq_u32_e64 s0, 3, v12
	s_delay_alu instid0(VALU_DEP_1)
	s_or_b32 vcc_lo, s0, vcc_lo
	s_wait_alu 0xfffe
	v_add_co_ci_u32_e32 v6, vcc_lo, 0, v6, vcc_lo
	v_lshlrev_b32_e32 v13, v19, v17
	v_lshrrev_b32_e32 v19, 16, v7
	v_cmp_ne_u32_e32 vcc_lo, 0, v0
	v_and_or_b32 v10, 0x1ff, v11, v10
	s_delay_alu instid0(VALU_DEP_4) | instskip(NEXT) | instid1(VALU_DEP_4)
	v_cmp_ne_u32_e64 s1, v13, v22
	v_mul_f16_e32 v12, v60, v19
	s_wait_alu 0xfffd
	v_cndmask_b32_e64 v0, 0, 1, vcc_lo
	v_cmp_gt_i32_e32 vcc_lo, 1, v20
	s_wait_alu 0xf1ff
	v_cndmask_b32_e64 v8, 0, 1, s1
	v_fmac_f16_e32 v12, v58, v7
	v_lshl_or_b32 v0, v0, 9, 0x7c00
	v_mul_f16_e32 v7, v60, v7
	s_delay_alu instid0(VALU_DEP_4)
	v_or_b32_e32 v13, v17, v8
	v_lshl_or_b32 v17, v20, 12, v4
	v_mul_f64_e32 v[8:9], s[8:9], v[14:15]
	v_cvt_f32_f16_e32 v12, v12
	v_lshrrev_b32_e32 v15, 8, v11
	v_fma_f16 v7, v58, v19, -v7
	s_wait_alu 0xfffd
	v_cndmask_b32_e32 v14, v17, v13, vcc_lo
	v_cmp_ne_u32_e32 vcc_lo, 0, v10
	v_bfe_u32 v17, v11, 20, 11
	v_cvt_f64_f32_e32 v[12:13], v12
	v_cvt_f32_f16_e32 v7, v7
	v_lshrrev_b32_e32 v11, 16, v11
	s_wait_alu 0xfffd
	v_cndmask_b32_e64 v10, 0, 1, vcc_lo
	v_cmp_gt_i32_e32 vcc_lo, 31, v16
	s_delay_alu instid0(VALU_DEP_2)
	v_and_or_b32 v10, 0xffe, v15, v10
	s_wait_alu 0xfffd
	v_cndmask_b32_e32 v6, 0x7c00, v6, vcc_lo
	v_cmp_eq_u32_e32 vcc_lo, 0x40f, v16
	v_and_b32_e32 v21, 7, v14
	v_sub_nc_u32_e32 v15, 0x3f1, v17
	s_wait_alu 0xfffd
	v_cndmask_b32_e32 v16, v6, v0, vcc_lo
	s_delay_alu instid0(VALU_DEP_3)
	v_cmp_lt_i32_e32 vcc_lo, 5, v21
	v_cmp_eq_u32_e64 s0, 3, v21
	v_med3_i32 v6, v15, 0, 13
	v_lshrrev_b32_e32 v15, 16, v1
	v_lshrrev_b32_e32 v1, 2, v14
	v_or_b32_e32 v0, 0x1000, v10
	s_or_b32 vcc_lo, s0, vcc_lo
	s_delay_alu instid0(VALU_DEP_3)
	v_and_or_b32 v15, 0x8000, v15, v16
	s_wait_alu 0xfffe
	v_add_co_ci_u32_e32 v1, vcc_lo, 0, v1, vcc_lo
	v_lshrrev_b32_e32 v14, v6, v0
	v_cmp_ne_u32_e32 vcc_lo, 0, v4
	v_and_b32_e32 v15, 0xffff, v15
	v_lshrrev_b32_e32 v21, 8, v9
	s_delay_alu instid0(VALU_DEP_4) | instskip(SKIP_4) | instid1(VALU_DEP_3)
	v_lshlrev_b32_e32 v6, v6, v14
	s_wait_alu 0xfffd
	v_cndmask_b32_e64 v4, 0, 1, vcc_lo
	v_cmp_gt_i32_e32 vcc_lo, 31, v20
	v_bfe_u32 v22, v9, 20, 11
	v_lshl_or_b32 v4, v4, 9, 0x7c00
	s_wait_alu 0xfffd
	v_cndmask_b32_e32 v19, 0x7c00, v1, vcc_lo
	v_and_or_b32 v1, 0x1ff, v9, v8
	v_cmp_ne_u32_e32 vcc_lo, v6, v0
	v_add_nc_u32_e32 v8, 0xfffffc10, v17
	s_wait_alu 0xfffd
	v_cndmask_b32_e64 v6, 0, 1, vcc_lo
	v_cmp_ne_u32_e32 vcc_lo, 0, v1
	v_cvt_f64_f32_e32 v[0:1], v7
	s_delay_alu instid0(VALU_DEP_3)
	v_or_b32_e32 v14, v14, v6
	s_wait_alu 0xfffd
	v_cndmask_b32_e64 v17, 0, 1, vcc_lo
	v_mul_f64_e32 v[6:7], s[8:9], v[12:13]
	v_lshl_or_b32 v12, v8, 12, v10
	v_sub_nc_u32_e32 v13, 0x3f1, v22
	v_cmp_gt_i32_e32 vcc_lo, 1, v8
	v_and_or_b32 v17, 0xffe, v21, v17
	v_add_nc_u32_e32 v21, 0x400, v43
	s_delay_alu instid0(VALU_DEP_4)
	v_med3_i32 v24, v13, 0, 13
	s_wait_alu 0xfffd
	v_cndmask_b32_e32 v14, v12, v14, vcc_lo
	v_or_b32_e32 v23, 0x1000, v17
	v_cmp_eq_u32_e32 vcc_lo, 0x40f, v20
	ds_load_2addr_b32 v[12:13], v21 offset0:56 offset1:108
	v_and_b32_e32 v16, 7, v14
	s_wait_alu 0xfffd
	v_cndmask_b32_e32 v4, v19, v4, vcc_lo
	v_lshrrev_b32_e32 v19, v24, v23
	s_delay_alu instid0(VALU_DEP_3) | instskip(SKIP_1) | instid1(VALU_DEP_4)
	v_cmp_lt_i32_e32 vcc_lo, 5, v16
	v_cmp_eq_u32_e64 s0, 3, v16
	v_and_or_b32 v18, 0x8000, v5, v4
	s_delay_alu instid0(VALU_DEP_4)
	v_lshlrev_b32_e32 v4, v24, v19
	v_lshrrev_b32_e32 v5, 2, v14
	v_add_nc_u32_e32 v14, 0xfffffc10, v22
	s_or_b32 vcc_lo, s0, vcc_lo
	v_lshl_or_b32 v18, v18, 16, v15
	v_cmp_ne_u32_e64 s1, v4, v23
	s_wait_alu 0xfffe
	v_add_co_ci_u32_e32 v5, vcc_lo, 0, v5, vcc_lo
	v_cmp_ne_u32_e32 vcc_lo, 0, v10
	v_lshrrev_b32_e32 v15, 16, v9
	s_wait_alu 0xf1ff
	v_cndmask_b32_e64 v4, 0, 1, s1
	s_wait_dscnt 0x0
	v_lshrrev_b32_e32 v16, 16, v12
	v_cmp_eq_u32_e64 s1, 0x40f, v8
	s_wait_alu 0xfffd
	v_cndmask_b32_e64 v10, 0, 1, vcc_lo
	v_cmp_gt_i32_e32 vcc_lo, 1, v14
	v_or_b32_e32 v4, v19, v4
	v_lshl_or_b32 v19, v14, 12, v17
	v_mul_f16_e32 v20, v57, v16
	v_bfe_u32 v23, v7, 20, 11
	v_mul_f64_e32 v[0:1], s[8:9], v[0:1]
	v_lshl_or_b32 v10, v10, 9, 0x7c00
	s_wait_alu 0xfffd
	v_cndmask_b32_e32 v19, v19, v4, vcc_lo
	v_and_or_b32 v4, 0x1ff, v7, v6
	v_cmp_gt_i32_e32 vcc_lo, 31, v8
	v_fmac_f16_e32 v20, v55, v12
	s_delay_alu instid0(VALU_DEP_4)
	v_lshrrev_b32_e32 v8, 2, v19
	s_wait_alu 0xfffd
	v_dual_cndmask_b32 v6, 0x7c00, v5 :: v_dual_and_b32 v5, 7, v19
	v_cmp_ne_u32_e32 vcc_lo, 0, v4
	v_cvt_f32_f16_e32 v4, v20
	v_lshrrev_b32_e32 v20, 8, v7
	s_wait_alu 0xf1ff
	v_cndmask_b32_e64 v6, v6, v10, s1
	v_cmp_eq_u32_e64 s0, 3, v5
	s_wait_alu 0xfffd
	v_cndmask_b32_e64 v22, 0, 1, vcc_lo
	v_cmp_lt_i32_e32 vcc_lo, 5, v5
	v_cvt_f64_f32_e32 v[4:5], v4
	v_and_or_b32 v6, 0x8000, v11, v6
	v_lshrrev_b32_e32 v7, 16, v7
	v_and_or_b32 v20, 0xffe, v20, v22
	s_or_b32 vcc_lo, s0, vcc_lo
	v_sub_nc_u32_e32 v22, 0x3f1, v23
	s_wait_alu 0xfffe
	v_add_co_ci_u32_e32 v8, vcc_lo, 0, v8, vcc_lo
	v_cmp_ne_u32_e32 vcc_lo, 0, v17
	v_or_b32_e32 v10, 0x1000, v20
	v_med3_i32 v19, v22, 0, 13
	v_and_b32_e32 v6, 0xffff, v6
	s_wait_alu 0xfffd
	v_cndmask_b32_e64 v17, 0, 1, vcc_lo
	v_cmp_gt_i32_e32 vcc_lo, 31, v14
	v_lshrrev_b32_e32 v22, v19, v10
	s_delay_alu instid0(VALU_DEP_3)
	v_lshl_or_b32 v17, v17, 9, 0x7c00
	s_wait_alu 0xfffd
	v_cndmask_b32_e32 v8, 0x7c00, v8, vcc_lo
	v_cmp_eq_u32_e32 vcc_lo, 0x40f, v14
	v_lshlrev_b32_e32 v11, v19, v22
	v_and_or_b32 v0, 0x1ff, v1, v0
	s_wait_alu 0xfffd
	v_cndmask_b32_e32 v14, v8, v17, vcc_lo
	v_mul_f16_e32 v8, v57, v12
	v_cmp_ne_u32_e32 vcc_lo, v11, v10
	v_lshrrev_b32_e32 v10, 8, v1
	v_bfe_u32 v12, v1, 20, 11
	v_and_or_b32 v14, 0x8000, v15, v14
	v_fma_f16 v8, v55, v16, -v8
	s_wait_alu 0xfffd
	v_cndmask_b32_e64 v9, 0, 1, vcc_lo
	v_cmp_ne_u32_e32 vcc_lo, 0, v0
	v_add_nc_u32_e32 v16, 0xfffffc10, v23
	v_cvt_f32_f16_e32 v8, v8
	s_delay_alu instid0(VALU_DEP_4)
	v_or_b32_e32 v11, v22, v9
	s_wait_alu 0xfffd
	v_cndmask_b32_e64 v0, 0, 1, vcc_lo
	v_mul_f64_e32 v[4:5], s[8:9], v[4:5]
	v_lshl_or_b32 v17, v16, 12, v20
	v_cvt_f64_f32_e32 v[8:9], v8
	v_cmp_gt_i32_e32 vcc_lo, 1, v16
	v_and_or_b32 v0, 0xffe, v10, v0
	v_sub_nc_u32_e32 v10, 0x3f1, v12
	v_lshl_or_b32 v22, v14, 16, v6
	s_wait_alu 0xfffd
	v_dual_cndmask_b32 v15, v17, v11 :: v_dual_add_nc_u32 v12, 0xfffffc10, v12
	v_or_b32_e32 v19, 0x1000, v0
	v_med3_i32 v10, v10, 0, 13
	v_add_co_u32 v2, vcc_lo, v2, s2
	s_wait_alu 0xfffd
	v_add_co_ci_u32_e32 v3, vcc_lo, s3, v3, vcc_lo
	s_delay_alu instid0(VALU_DEP_3) | instskip(SKIP_1) | instid1(VALU_DEP_2)
	v_lshrrev_b32_e32 v17, v10, v19
	v_and_b32_e32 v6, 7, v15
	v_lshlrev_b32_e32 v14, v10, v17
	v_add_co_u32 v10, vcc_lo, v2, s2
	s_wait_alu 0xfffd
	v_add_co_ci_u32_e32 v11, vcc_lo, s3, v3, vcc_lo
	v_cmp_lt_i32_e32 vcc_lo, 5, v6
	v_cmp_eq_u32_e64 s0, 3, v6
	v_cmp_ne_u32_e64 s1, v14, v19
	v_lshrrev_b32_e32 v6, 2, v15
	v_lshrrev_b32_e32 v19, 16, v13
	v_lshl_or_b32 v15, v12, 12, v0
	s_or_b32 vcc_lo, s0, vcc_lo
	v_cndmask_b32_e64 v14, 0, 1, s1
	s_wait_alu 0xfffe
	v_add_co_ci_u32_e32 v6, vcc_lo, 0, v6, vcc_lo
	v_cmp_ne_u32_e32 vcc_lo, 0, v20
	s_delay_alu instid0(VALU_DEP_3)
	v_or_b32_e32 v14, v17, v14
	v_mul_f16_e32 v17, v56, v19
	v_and_or_b32 v4, 0x1ff, v5, v4
	v_mul_f64_e32 v[8:9], s[8:9], v[8:9]
	s_wait_alu 0xfffd
	v_cndmask_b32_e64 v20, 0, 1, vcc_lo
	v_cmp_gt_i32_e32 vcc_lo, 1, v12
	v_fmac_f16_e32 v17, v54, v13
	v_lshrrev_b32_e32 v24, 8, v5
	v_bfe_u32 v25, v5, 20, 11
	v_lshl_or_b32 v20, v20, 9, 0x7c00
	s_wait_alu 0xfffd
	v_cndmask_b32_e32 v23, v15, v14, vcc_lo
	v_cmp_gt_i32_e32 vcc_lo, 31, v16
	v_cvt_f32_f16_e32 v14, v17
	v_mul_f16_e32 v13, v56, v13
	s_wait_alu 0xfffd
	v_dual_cndmask_b32 v6, 0x7c00, v6 :: v_dual_and_b32 v17, 7, v23
	v_cmp_ne_u32_e32 vcc_lo, 0, v4
	v_cvt_f64_f32_e32 v[14:15], v14
	v_fma_f16 v13, v54, v19, -v13
	s_delay_alu instid0(VALU_DEP_4)
	v_cmp_eq_u32_e64 s0, 3, v17
	s_wait_alu 0xfffd
	v_cndmask_b32_e64 v4, 0, 1, vcc_lo
	v_cmp_eq_u32_e32 vcc_lo, 0x40f, v16
	v_sub_nc_u32_e32 v16, 0x3f1, v25
	v_cvt_f32_f16_e32 v13, v13
	s_delay_alu instid0(VALU_DEP_4) | instskip(NEXT) | instid1(VALU_DEP_3)
	v_and_or_b32 v4, 0xffe, v24, v4
	v_med3_i32 v16, v16, 0, 13
	v_bfe_u32 v26, v9, 20, 11
	s_wait_alu 0xfffd
	v_cndmask_b32_e32 v6, v6, v20, vcc_lo
	v_cmp_lt_i32_e32 vcc_lo, 5, v17
	v_lshrrev_b32_e32 v17, 2, v23
	v_or_b32_e32 v20, 0x1000, v4
	s_delay_alu instid0(VALU_DEP_4)
	v_and_or_b32 v23, 0x8000, v7, v6
	s_or_b32 vcc_lo, s0, vcc_lo
	v_cvt_f64_f32_e32 v[6:7], v13
	s_wait_alu 0xfffe
	v_add_co_ci_u32_e32 v17, vcc_lo, 0, v17, vcc_lo
	v_cmp_ne_u32_e32 vcc_lo, 0, v0
	v_lshrrev_b32_e32 v19, v16, v20
	s_wait_alu 0xfffd
	v_cndmask_b32_e64 v0, 0, 1, vcc_lo
	v_cmp_gt_i32_e32 vcc_lo, 31, v12
	s_delay_alu instid0(VALU_DEP_3) | instskip(NEXT) | instid1(VALU_DEP_3)
	v_lshlrev_b32_e32 v13, v16, v19
	v_lshl_or_b32 v0, v0, 9, 0x7c00
	s_wait_alu 0xfffd
	v_cndmask_b32_e32 v17, 0x7c00, v17, vcc_lo
	v_cmp_eq_u32_e32 vcc_lo, 0x40f, v12
	s_wait_alu 0xfffd
	s_delay_alu instid0(VALU_DEP_2)
	v_cndmask_b32_e32 v16, v17, v0, vcc_lo
	v_and_or_b32 v0, 0x1ff, v9, v8
	v_cmp_ne_u32_e32 vcc_lo, v13, v20
	v_lshrrev_b32_e32 v8, 16, v1
	v_add_nc_u32_e32 v20, 0xfffffc10, v25
	v_lshrrev_b32_e32 v25, 8, v9
	ds_load_2addr_b32 v[12:13], v21 offset0:160 offset1:212
	s_wait_alu 0xfffd
	v_cndmask_b32_e64 v17, 0, 1, vcc_lo
	v_cmp_ne_u32_e32 vcc_lo, 0, v0
	v_mul_f64_e32 v[0:1], s[8:9], v[14:15]
	v_and_or_b32 v8, 0x8000, v8, v16
	v_lshl_or_b32 v15, v20, 12, v4
	v_or_b32_e32 v14, v19, v17
	s_wait_alu 0xfffd
	v_cndmask_b32_e64 v24, 0, 1, vcc_lo
	v_sub_nc_u32_e32 v17, 0x3f1, v26
	v_cmp_gt_i32_e32 vcc_lo, 1, v20
	v_and_b32_e32 v19, 0xffff, v23
	s_clause 0x1
	global_store_b32 v[2:3], v18, off
	global_store_b32 v[10:11], v22, off
	v_and_or_b32 v16, 0xffe, v25, v24
	v_med3_i32 v17, v17, 0, 13
	s_wait_alu 0xfffd
	v_cndmask_b32_e32 v14, v15, v14, vcc_lo
	v_lshl_or_b32 v8, v8, 16, v19
	v_add_co_u32 v2, vcc_lo, v10, s2
	v_or_b32_e32 v15, 0x1000, v16
	s_delay_alu instid0(VALU_DEP_4)
	v_and_b32_e32 v18, 7, v14
	s_wait_alu 0xfffd
	v_add_co_ci_u32_e32 v3, vcc_lo, s3, v11, vcc_lo
	s_wait_dscnt 0x0
	v_lshrrev_b32_e32 v21, 16, v12
	v_lshrrev_b32_e32 v19, v17, v15
	v_cmp_lt_i32_e32 vcc_lo, 5, v18
	v_cmp_eq_u32_e64 s0, 3, v18
	v_mul_f64_e32 v[6:7], s[8:9], v[6:7]
	v_lshrrev_b32_e32 v14, 2, v14
	v_lshlrev_b32_e32 v10, v17, v19
	v_mul_f16_e32 v11, v53, v21
	s_or_b32 vcc_lo, s0, vcc_lo
	v_lshrrev_b32_e32 v9, 16, v9
	s_wait_alu 0xfffe
	v_add_co_ci_u32_e32 v14, vcc_lo, 0, v14, vcc_lo
	v_cmp_ne_u32_e64 s1, v10, v15
	v_add_nc_u32_e32 v15, 0xfffffc10, v26
	v_cmp_ne_u32_e32 vcc_lo, 0, v4
	v_fmac_f16_e32 v11, v52, v12
	v_mul_f16_e32 v12, v53, v12
	s_wait_alu 0xf1ff
	v_cndmask_b32_e64 v10, 0, 1, s1
	v_lshl_or_b32 v18, v15, 12, v16
	v_and_or_b32 v0, 0x1ff, v1, v0
	s_wait_alu 0xfffd
	v_cndmask_b32_e64 v4, 0, 1, vcc_lo
	v_cmp_gt_i32_e32 vcc_lo, 1, v15
	v_or_b32_e32 v17, v19, v10
	v_cvt_f32_f16_e32 v10, v11
	v_bfe_u32 v19, v1, 20, 11
	v_lshl_or_b32 v4, v4, 9, 0x7c00
	v_fma_f16 v12, v52, v21, -v12
	s_wait_alu 0xfffd
	v_cndmask_b32_e32 v17, v18, v17, vcc_lo
	v_cmp_ne_u32_e32 vcc_lo, 0, v0
	v_cvt_f64_f32_e32 v[10:11], v10
	v_lshrrev_b32_e32 v18, 8, v1
	v_cvt_f32_f16_e32 v12, v12
	v_and_b32_e32 v22, 7, v17
	s_wait_alu 0xfffd
	v_cndmask_b32_e64 v0, 0, 1, vcc_lo
	v_cmp_gt_i32_e32 vcc_lo, 31, v20
	global_store_b32 v[2:3], v8, off
	v_lshrrev_b32_e32 v1, 16, v1
	v_cmp_eq_u32_e64 s0, 3, v22
	v_and_or_b32 v0, 0xffe, v18, v0
	s_wait_alu 0xfffd
	v_cndmask_b32_e32 v14, 0x7c00, v14, vcc_lo
	v_sub_nc_u32_e32 v18, 0x3f1, v19
	v_cmp_eq_u32_e32 vcc_lo, 0x40f, v20
	v_lshrrev_b32_e32 v20, 16, v5
	v_lshrrev_b32_e32 v5, 2, v17
	v_and_or_b32 v6, 0x1ff, v7, v6
	v_med3_i32 v18, v18, 0, 13
	s_wait_alu 0xfffd
	v_cndmask_b32_e32 v14, v14, v4, vcc_lo
	v_or_b32_e32 v4, 0x1000, v0
	v_cmp_lt_i32_e32 vcc_lo, 5, v22
	v_bfe_u32 v21, v7, 20, 11
	v_add_nc_u32_e32 v19, 0xfffffc10, v19
	v_and_or_b32 v8, 0x8000, v20, v14
	v_lshrrev_b32_e32 v17, v18, v4
	s_or_b32 vcc_lo, s0, vcc_lo
	v_add_nc_u32_e32 v14, 0xfffffc10, v21
	s_wait_alu 0xfffe
	v_add_co_ci_u32_e32 v22, vcc_lo, 0, v5, vcc_lo
	v_lshlrev_b32_e32 v5, v18, v17
	v_cmp_ne_u32_e32 vcc_lo, 0, v6
	v_lshrrev_b32_e32 v18, 8, v7
	s_wait_alu 0xfffd
	v_cndmask_b32_e64 v6, 0, 1, vcc_lo
	v_cmp_ne_u32_e32 vcc_lo, v5, v4
	v_mul_f64_e32 v[4:5], s[8:9], v[10:11]
	s_delay_alu instid0(VALU_DEP_3)
	v_and_or_b32 v6, 0xffe, v18, v6
	s_wait_alu 0xfffd
	v_cndmask_b32_e64 v23, 0, 1, vcc_lo
	v_cmp_ne_u32_e32 vcc_lo, 0, v16
	v_sub_nc_u32_e32 v18, 0x3f1, v21
	v_cvt_f64_f32_e32 v[10:11], v12
	s_delay_alu instid0(VALU_DEP_4)
	v_or_b32_e32 v16, v17, v23
	s_wait_alu 0xfffd
	v_cndmask_b32_e64 v12, 0, 1, vcc_lo
	v_cmp_gt_i32_e32 vcc_lo, 31, v15
	v_lshl_or_b32 v17, v19, 12, v0
	v_or_b32_e32 v23, 0x1000, v6
	v_med3_i32 v18, v18, 0, 13
	v_lshl_or_b32 v12, v12, 9, 0x7c00
	s_wait_alu 0xfffd
	v_cndmask_b32_e32 v22, 0x7c00, v22, vcc_lo
	v_cmp_gt_i32_e32 vcc_lo, 1, v19
	s_wait_alu 0xfffd
	v_cndmask_b32_e32 v16, v17, v16, vcc_lo
	v_lshrrev_b32_e32 v17, v18, v23
	v_cmp_eq_u32_e32 vcc_lo, 0x40f, v15
	s_delay_alu instid0(VALU_DEP_3) | instskip(NEXT) | instid1(VALU_DEP_3)
	v_and_b32_e32 v15, 7, v16
	v_lshlrev_b32_e32 v18, v18, v17
	s_wait_alu 0xfffd
	v_cndmask_b32_e32 v12, v22, v12, vcc_lo
	s_delay_alu instid0(VALU_DEP_3) | instskip(NEXT) | instid1(VALU_DEP_3)
	v_cmp_lt_i32_e32 vcc_lo, 5, v15
	v_cmp_ne_u32_e64 s0, v18, v23
	s_delay_alu instid0(VALU_DEP_3) | instskip(SKIP_2) | instid1(VALU_DEP_3)
	v_and_or_b32 v12, 0x8000, v9, v12
	v_lshrrev_b32_e32 v18, 16, v13
	s_wait_alu 0xf1ff
	v_cndmask_b32_e64 v9, 0, 1, s0
	v_cmp_eq_u32_e64 s0, 3, v15
	v_and_or_b32 v4, 0x1ff, v5, v4
	v_lshrrev_b32_e32 v20, 8, v5
	v_bfe_u32 v21, v5, 20, 11
	v_or_b32_e32 v9, v17, v9
	v_and_b32_e32 v15, 0xffff, v8
	v_lshrrev_b32_e32 v8, 2, v16
	s_or_b32 vcc_lo, s0, vcc_lo
	v_lshl_or_b32 v16, v14, 12, v6
	v_lshrrev_b32_e32 v5, 16, v5
	s_wait_alu 0xfffe
	v_add_co_ci_u32_e32 v17, vcc_lo, 0, v8, vcc_lo
	v_cmp_ne_u32_e32 vcc_lo, 0, v0
	s_wait_alu 0xfffd
	v_cndmask_b32_e64 v0, 0, 1, vcc_lo
	v_cmp_gt_i32_e32 vcc_lo, 1, v14
	s_delay_alu instid0(VALU_DEP_2)
	v_lshl_or_b32 v0, v0, 9, 0x7c00
	s_wait_alu 0xfffd
	v_cndmask_b32_e32 v16, v16, v9, vcc_lo
	v_cmp_gt_i32_e32 vcc_lo, 31, v19
	v_mul_f64_e32 v[8:9], s[8:9], v[10:11]
	v_mul_f16_e32 v11, v51, v18
	s_wait_alu 0xfffd
	v_cndmask_b32_e32 v10, 0x7c00, v17, vcc_lo
	v_cmp_ne_u32_e32 vcc_lo, 0, v4
	s_delay_alu instid0(VALU_DEP_3)
	v_fmac_f16_e32 v11, v50, v13
	v_and_b32_e32 v17, 7, v16
	v_lshrrev_b32_e32 v16, 2, v16
	s_wait_alu 0xfffd
	v_cndmask_b32_e64 v4, 0, 1, vcc_lo
	v_cmp_eq_u32_e32 vcc_lo, 0x40f, v19
	v_cmp_eq_u32_e64 s0, 3, v17
	v_sub_nc_u32_e32 v19, 0x3f1, v21
	s_delay_alu instid0(VALU_DEP_4)
	v_and_or_b32 v4, 0xffe, v20, v4
	s_wait_alu 0xfffd
	v_cndmask_b32_e32 v0, v10, v0, vcc_lo
	v_cvt_f32_f16_e32 v10, v11
	v_cmp_lt_i32_e32 vcc_lo, 5, v17
	v_med3_i32 v19, v19, 0, 13
	v_or_b32_e32 v17, 0x1000, v4
	v_and_or_b32 v22, 0x8000, v1, v0
	v_cvt_f64_f32_e32 v[10:11], v10
	s_or_b32 vcc_lo, s0, vcc_lo
	v_mul_f16_e32 v0, v51, v13
	s_wait_alu 0xfffe
	v_add_co_ci_u32_e32 v16, vcc_lo, 0, v16, vcc_lo
	v_cmp_ne_u32_e32 vcc_lo, 0, v6
	v_lshrrev_b32_e32 v20, v19, v17
	v_fma_f16 v0, v50, v18, -v0
	v_add_nc_u32_e32 v18, 0x800, v43
	s_wait_alu 0xfffd
	v_cndmask_b32_e64 v6, 0, 1, vcc_lo
	v_cmp_gt_i32_e32 vcc_lo, 31, v14
	v_lshlrev_b32_e32 v1, v19, v20
	v_cvt_f32_f16_e32 v0, v0
	s_delay_alu instid0(VALU_DEP_4)
	v_lshl_or_b32 v6, v6, 9, 0x7c00
	s_wait_alu 0xfffd
	v_cndmask_b32_e32 v16, 0x7c00, v16, vcc_lo
	v_cmp_eq_u32_e32 vcc_lo, 0x40f, v14
	v_lshrrev_b32_e32 v14, 16, v7
	s_wait_alu 0xfffd
	s_delay_alu instid0(VALU_DEP_3)
	v_cndmask_b32_e32 v13, v16, v6, vcc_lo
	v_and_or_b32 v6, 0x1ff, v9, v8
	v_cmp_ne_u32_e32 vcc_lo, v1, v17
	v_cvt_f64_f32_e32 v[0:1], v0
	v_add_nc_u32_e32 v8, 0xfffffc10, v21
	v_lshrrev_b32_e32 v16, 8, v9
	v_bfe_u32 v17, v9, 20, 11
	s_wait_alu 0xfffd
	v_cndmask_b32_e64 v7, 0, 1, vcc_lo
	v_cmp_ne_u32_e32 vcc_lo, 0, v6
	v_lshl_or_b32 v21, v12, 16, v15
	v_and_or_b32 v12, 0x8000, v14, v13
	v_and_b32_e32 v13, 0xffff, v22
	v_or_b32_e32 v19, v20, v7
	s_wait_alu 0xfffd
	v_cndmask_b32_e64 v6, 0, 1, vcc_lo
	v_lshl_or_b32 v20, v8, 12, v4
	v_cmp_gt_i32_e32 vcc_lo, 1, v8
	v_mul_f64_e32 v[10:11], s[8:9], v[10:11]
	v_lshl_or_b32 v22, v12, 16, v13
	v_and_or_b32 v16, 0xffe, v16, v6
	ds_load_2addr_b32 v[6:7], v18 offset0:8 offset1:60
	v_sub_nc_u32_e32 v18, 0x3f1, v17
	s_wait_alu 0xfffd
	v_cndmask_b32_e32 v19, v20, v19, vcc_lo
	v_add_co_u32 v2, vcc_lo, v2, s2
	v_or_b32_e32 v20, 0x1000, v16
	v_med3_i32 v18, v18, 0, 13
	s_delay_alu instid0(VALU_DEP_4)
	v_and_b32_e32 v14, 7, v19
	s_wait_alu 0xfffd
	v_add_co_ci_u32_e32 v3, vcc_lo, s3, v3, vcc_lo
	v_lshrrev_b32_e32 v13, 2, v19
	v_lshrrev_b32_e32 v15, v18, v20
	v_cmp_lt_i32_e32 vcc_lo, 5, v14
	v_cmp_eq_u32_e64 s0, 3, v14
	v_add_nc_u32_e32 v17, 0xfffffc10, v17
	s_delay_alu instid0(VALU_DEP_4) | instskip(NEXT) | instid1(VALU_DEP_3)
	v_lshlrev_b32_e32 v12, v18, v15
	s_or_b32 vcc_lo, s0, vcc_lo
	s_wait_dscnt 0x0
	v_lshrrev_b32_e32 v18, 16, v6
	s_delay_alu instid0(VALU_DEP_2)
	v_cmp_ne_u32_e64 s1, v12, v20
	s_wait_alu 0xfffe
	v_add_co_ci_u32_e32 v13, vcc_lo, 0, v13, vcc_lo
	v_cmp_ne_u32_e32 vcc_lo, 0, v4
	v_mul_f16_e32 v14, v49, v18
	s_wait_alu 0xf1ff
	v_cndmask_b32_e64 v12, 0, 1, s1
	v_mul_f64_e32 v[0:1], s[8:9], v[0:1]
	s_wait_alu 0xfffd
	v_cndmask_b32_e64 v4, 0, 1, vcc_lo
	v_fmac_f16_e32 v14, v48, v6
	v_or_b32_e32 v12, v15, v12
	v_lshl_or_b32 v15, v17, 12, v16
	v_cmp_gt_i32_e32 vcc_lo, 1, v17
	v_lshl_or_b32 v4, v4, 9, 0x7c00
	v_and_or_b32 v10, 0x1ff, v11, v10
	v_mul_f16_e32 v6, v49, v6
	s_wait_alu 0xfffd
	v_cndmask_b32_e32 v19, v15, v12, vcc_lo
	v_cvt_f32_f16_e32 v12, v14
	v_cmp_gt_i32_e32 vcc_lo, 31, v8
	v_cmp_ne_u32_e64 s0, 0, v10
	v_lshrrev_b32_e32 v10, 8, v11
	v_and_b32_e32 v23, 7, v19
	v_lshrrev_b32_e32 v19, 2, v19
	s_wait_alu 0xfffd
	v_cndmask_b32_e32 v20, 0x7c00, v13, vcc_lo
	v_cvt_f64_f32_e32 v[12:13], v12
	v_add_co_u32 v14, vcc_lo, v2, s2
	s_wait_alu 0xfffd
	v_add_co_ci_u32_e32 v15, vcc_lo, s3, v3, vcc_lo
	v_cmp_eq_u32_e32 vcc_lo, 0x40f, v8
	s_wait_alu 0xf1ff
	v_cndmask_b32_e64 v8, 0, 1, s0
	v_cmp_eq_u32_e64 s0, 3, v23
	v_fma_f16 v6, v48, v18, -v6
	global_store_b32 v[2:3], v21, off
	global_store_b32 v[14:15], v22, off
	s_wait_alu 0xfffd
	v_cndmask_b32_e32 v4, v20, v4, vcc_lo
	v_cmp_lt_i32_e32 vcc_lo, 5, v23
	v_bfe_u32 v20, v11, 20, 11
	v_and_or_b32 v10, 0xffe, v10, v8
	v_cvt_f32_f16_e32 v6, v6
	v_and_or_b32 v24, 0x8000, v5, v4
	s_or_b32 vcc_lo, s0, vcc_lo
	v_sub_nc_u32_e32 v8, 0x3f1, v20
	s_wait_alu 0xfffe
	v_add_co_ci_u32_e32 v19, vcc_lo, 0, v19, vcc_lo
	v_cmp_ne_u32_e32 vcc_lo, 0, v16
	v_or_b32_e32 v23, 0x1000, v10
	v_med3_i32 v8, v8, 0, 13
	v_and_or_b32 v0, 0x1ff, v1, v0
	v_add_nc_u32_e32 v18, 0xfffffc10, v20
	s_wait_alu 0xfffd
	v_cndmask_b32_e64 v16, 0, 1, vcc_lo
	v_cmp_gt_i32_e32 vcc_lo, 31, v17
	v_lshrrev_b32_e32 v25, v8, v23
	v_lshrrev_b32_e32 v11, 16, v11
	v_cmp_eq_u32_e64 s1, 0x40f, v18
	v_lshl_or_b32 v16, v16, 9, 0x7c00
	s_wait_alu 0xfffd
	v_cndmask_b32_e32 v19, 0x7c00, v19, vcc_lo
	v_cmp_eq_u32_e32 vcc_lo, 0x40f, v17
	v_lshlrev_b32_e32 v8, v8, v25
	v_lshrrev_b32_e32 v17, 16, v9
	v_lshrrev_b32_e32 v9, 8, v1
	s_wait_alu 0xfffd
	v_cndmask_b32_e32 v16, v19, v16, vcc_lo
	v_cmp_ne_u32_e32 vcc_lo, 0, v0
	v_bfe_u32 v19, v1, 20, 11
	v_mul_f64_e32 v[4:5], s[8:9], v[12:13]
	v_lshl_or_b32 v13, v18, 12, v10
	v_lshrrev_b32_e32 v1, 16, v1
	s_wait_alu 0xfffd
	v_cndmask_b32_e64 v0, 0, 1, vcc_lo
	v_cmp_ne_u32_e32 vcc_lo, v8, v23
	s_delay_alu instid0(VALU_DEP_2)
	v_and_or_b32 v0, 0xffe, v9, v0
	s_wait_alu 0xfffd
	v_cndmask_b32_e64 v8, 0, 1, vcc_lo
	v_sub_nc_u32_e32 v9, 0x3f1, v19
	v_cmp_gt_i32_e32 vcc_lo, 1, v18
	v_or_b32_e32 v20, 0x1000, v0
	s_delay_alu instid0(VALU_DEP_4) | instskip(NEXT) | instid1(VALU_DEP_4)
	v_or_b32_e32 v12, v25, v8
	v_med3_i32 v23, v9, 0, 13
	v_cvt_f64_f32_e32 v[8:9], v6
	v_and_or_b32 v6, 0x8000, v17, v16
	v_and_b32_e32 v16, 0xffff, v24
	s_wait_alu 0xfffd
	v_cndmask_b32_e32 v12, v13, v12, vcc_lo
	v_lshrrev_b32_e32 v13, v23, v20
	v_add_co_u32 v2, vcc_lo, v14, s2
	v_lshl_or_b32 v16, v6, 16, v16
	s_delay_alu instid0(VALU_DEP_4) | instskip(NEXT) | instid1(VALU_DEP_4)
	v_and_b32_e32 v6, 7, v12
	v_lshlrev_b32_e32 v17, v23, v13
	v_lshrrev_b32_e32 v14, 16, v7
	s_wait_alu 0xfffd
	v_add_co_ci_u32_e32 v3, vcc_lo, s3, v15, vcc_lo
	v_cmp_lt_i32_e32 vcc_lo, 5, v6
	v_cmp_ne_u32_e64 s0, v17, v20
	v_add_nc_u32_e32 v17, 0xfffffc10, v19
	v_mul_f16_e32 v19, v47, v14
	s_wait_alu 0xf1ff
	s_delay_alu instid0(VALU_DEP_3)
	v_cndmask_b32_e64 v15, 0, 1, s0
	v_cmp_eq_u32_e64 s0, 3, v6
	v_lshrrev_b32_e32 v6, 2, v12
	v_fmac_f16_e32 v19, v46, v7
	v_and_or_b32 v4, 0x1ff, v5, v4
	v_or_b32_e32 v12, v13, v15
	s_or_b32 vcc_lo, s0, vcc_lo
	v_lshl_or_b32 v13, v17, 12, v0
	s_wait_alu 0xfffe
	v_add_co_ci_u32_e32 v6, vcc_lo, 0, v6, vcc_lo
	v_cmp_gt_i32_e32 vcc_lo, 1, v17
	v_cvt_f32_f16_e32 v15, v19
	v_lshrrev_b32_e32 v20, 8, v5
	s_wait_alu 0xfffd
	v_cndmask_b32_e32 v19, v13, v12, vcc_lo
	v_cmp_ne_u32_e32 vcc_lo, 0, v4
	v_cvt_f64_f32_e32 v[12:13], v15
	v_bfe_u32 v15, v5, 20, 11
	v_mul_f64_e32 v[8:9], s[8:9], v[8:9]
	v_and_b32_e32 v21, 7, v19
	s_wait_alu 0xfffd
	v_cndmask_b32_e64 v4, 0, 1, vcc_lo
	v_cmp_ne_u32_e32 vcc_lo, 0, v10
	v_lshrrev_b32_e32 v19, 2, v19
	v_cmp_eq_u32_e64 s0, 3, v21
	s_delay_alu instid0(VALU_DEP_4)
	v_and_or_b32 v4, 0xffe, v20, v4
	s_wait_alu 0xfffd
	v_cndmask_b32_e64 v10, 0, 1, vcc_lo
	v_cmp_gt_i32_e32 vcc_lo, 31, v18
	v_sub_nc_u32_e32 v20, 0x3f1, v15
	v_add_nc_u32_e32 v15, 0xfffffc10, v15
	v_or_b32_e32 v22, 0x1000, v4
	v_lshl_or_b32 v10, v10, 9, 0x7c00
	s_wait_alu 0xfffd
	v_cndmask_b32_e32 v6, 0x7c00, v6, vcc_lo
	v_cmp_lt_i32_e32 vcc_lo, 5, v21
	v_med3_i32 v20, v20, 0, 13
	s_delay_alu instid0(VALU_DEP_3) | instskip(SKIP_1) | instid1(VALU_DEP_2)
	v_cndmask_b32_e64 v6, v6, v10, s1
	s_or_b32 vcc_lo, s0, vcc_lo
	v_lshrrev_b32_e32 v10, v20, v22
	s_wait_alu 0xfffe
	v_add_co_ci_u32_e32 v18, vcc_lo, 0, v19, vcc_lo
	v_cmp_ne_u32_e32 vcc_lo, 0, v0
	v_and_or_b32 v11, 0x8000, v11, v6
	v_lshlrev_b32_e32 v19, v20, v10
	s_wait_alu 0xfffd
	v_cndmask_b32_e64 v0, 0, 1, vcc_lo
	v_cmp_gt_i32_e32 vcc_lo, 31, v17
	v_and_b32_e32 v11, 0xffff, v11
	s_delay_alu instid0(VALU_DEP_3)
	v_lshl_or_b32 v0, v0, 9, 0x7c00
	s_wait_alu 0xfffd
	v_cndmask_b32_e32 v18, 0x7c00, v18, vcc_lo
	v_cmp_ne_u32_e32 vcc_lo, v19, v22
	v_and_or_b32 v8, 0x1ff, v9, v8
	s_wait_alu 0xfffd
	v_cndmask_b32_e64 v6, 0, 1, vcc_lo
	v_cmp_eq_u32_e32 vcc_lo, 0x40f, v17
	ds_load_b32 v17, v43 offset:2496
	v_or_b32_e32 v10, v10, v6
	s_wait_alu 0xfffd
	v_cndmask_b32_e32 v0, v18, v0, vcc_lo
	v_mul_f16_e32 v18, v47, v7
	v_mul_f64_e32 v[6:7], s[8:9], v[12:13]
	v_lshl_or_b32 v12, v15, 12, v4
	v_cmp_gt_i32_e32 vcc_lo, 1, v15
	s_delay_alu instid0(VALU_DEP_4)
	v_fma_f16 v13, v46, v14, -v18
	v_bfe_u32 v14, v9, 20, 11
	v_and_or_b32 v18, 0x8000, v1, v0
	s_wait_alu 0xfffd
	v_cndmask_b32_e32 v10, v12, v10, vcc_lo
	v_cmp_ne_u32_e32 vcc_lo, 0, v8
	v_cvt_f32_f16_e32 v12, v13
	v_lshrrev_b32_e32 v13, 8, v9
	v_lshl_or_b32 v18, v18, 16, v11
	v_and_b32_e32 v19, 7, v10
	s_wait_alu 0xfffd
	v_cndmask_b32_e64 v8, 0, 1, vcc_lo
	v_cvt_f64_f32_e32 v[0:1], v12
	v_sub_nc_u32_e32 v12, 0x3f1, v14
	v_lshrrev_b32_e32 v10, 2, v10
	v_cmp_lt_i32_e32 vcc_lo, 5, v19
	v_and_or_b32 v8, 0xffe, v13, v8
	s_wait_dscnt 0x0
	v_lshrrev_b32_e32 v13, 16, v17
	v_cmp_eq_u32_e64 s0, 3, v19
	v_med3_i32 v12, v12, 0, 13
	v_add_nc_u32_e32 v14, 0xfffffc10, v14
	v_or_b32_e32 v20, 0x1000, v8
	v_mul_f16_e32 v21, v45, v13
	s_or_b32 vcc_lo, s0, vcc_lo
	s_wait_alu 0xfffe
	v_add_co_ci_u32_e32 v10, vcc_lo, 0, v10, vcc_lo
	v_lshrrev_b32_e32 v19, v12, v20
	v_fmac_f16_e32 v21, v44, v17
	v_cmp_ne_u32_e32 vcc_lo, 0, v4
	v_mul_f16_e32 v17, v45, v17
	s_delay_alu instid0(VALU_DEP_4) | instskip(NEXT) | instid1(VALU_DEP_4)
	v_lshlrev_b32_e32 v12, v12, v19
	v_cvt_f32_f16_e32 v11, v21
	s_wait_alu 0xfffd
	v_cndmask_b32_e64 v4, 0, 1, vcc_lo
	v_cmp_gt_i32_e32 vcc_lo, 31, v15
	v_and_or_b32 v6, 0x1ff, v7, v6
	v_fma_f16 v13, v44, v13, -v17
	v_lshl_or_b32 v17, v14, 12, v8
	v_lshl_or_b32 v4, v4, 9, 0x7c00
	s_wait_alu 0xfffd
	v_cndmask_b32_e32 v21, 0x7c00, v10, vcc_lo
	v_cvt_f64_f32_e32 v[10:11], v11
	v_cmp_ne_u32_e32 vcc_lo, v12, v20
	v_lshrrev_b32_e32 v20, 8, v7
	v_cvt_f32_f16_e32 v13, v13
	s_wait_alu 0xfffd
	v_cndmask_b32_e64 v12, 0, 1, vcc_lo
	v_cmp_ne_u32_e32 vcc_lo, 0, v6
	v_mul_f64_e32 v[0:1], s[8:9], v[0:1]
	s_delay_alu instid0(VALU_DEP_3)
	v_or_b32_e32 v12, v19, v12
	s_wait_alu 0xfffd
	v_cndmask_b32_e64 v6, 0, 1, vcc_lo
	v_bfe_u32 v19, v7, 20, 11
	v_cmp_gt_i32_e32 vcc_lo, 1, v14
	v_lshrrev_b32_e32 v7, 16, v7
	s_delay_alu instid0(VALU_DEP_4) | instskip(NEXT) | instid1(VALU_DEP_4)
	v_and_or_b32 v6, 0xffe, v20, v6
	v_sub_nc_u32_e32 v20, 0x3f1, v19
	v_add_nc_u32_e32 v19, 0xfffffc10, v19
	s_wait_alu 0xfffd
	v_cndmask_b32_e32 v17, v17, v12, vcc_lo
	v_cmp_eq_u32_e32 vcc_lo, 0x40f, v15
	v_or_b32_e32 v22, 0x1000, v6
	v_med3_i32 v20, v20, 0, 13
	v_cvt_f64_f32_e32 v[12:13], v13
	v_and_b32_e32 v23, 7, v17
	s_wait_alu 0xfffd
	v_cndmask_b32_e32 v15, v21, v4, vcc_lo
	v_add_co_u32 v4, vcc_lo, v2, s2
	v_lshrrev_b32_e32 v24, v20, v22
	v_lshrrev_b32_e32 v21, 16, v5
	s_wait_alu 0xfffd
	v_add_co_ci_u32_e32 v5, vcc_lo, s3, v3, vcc_lo
	v_cmp_lt_i32_e32 vcc_lo, 5, v23
	v_cmp_eq_u32_e64 s0, 3, v23
	v_lshrrev_b32_e32 v17, 2, v17
	v_lshlrev_b32_e32 v20, v20, v24
	v_and_or_b32 v15, 0x8000, v21, v15
	v_mul_f64_e32 v[10:11], s[8:9], v[10:11]
	s_or_b32 vcc_lo, s0, vcc_lo
	v_lshl_or_b32 v21, v19, 12, v6
	s_wait_alu 0xfffe
	v_add_co_ci_u32_e32 v17, vcc_lo, 0, v17, vcc_lo
	v_cmp_ne_u32_e64 s1, v20, v22
	v_cmp_ne_u32_e32 vcc_lo, 0, v8
	v_and_or_b32 v0, 0x1ff, v1, v0
	s_wait_alu 0xf1ff
	s_delay_alu instid0(VALU_DEP_3)
	v_cndmask_b32_e64 v20, 0, 1, s1
	s_wait_alu 0xfffd
	v_cndmask_b32_e64 v8, 0, 1, vcc_lo
	v_cmp_gt_i32_e32 vcc_lo, 31, v14
	v_lshrrev_b32_e32 v22, 8, v1
	v_or_b32_e32 v20, v24, v20
	s_delay_alu instid0(VALU_DEP_4)
	v_lshl_or_b32 v8, v8, 9, 0x7c00
	s_wait_alu 0xfffd
	v_cndmask_b32_e32 v17, 0x7c00, v17, vcc_lo
	v_cmp_gt_i32_e32 vcc_lo, 1, v19
	s_wait_alu 0xfffd
	v_cndmask_b32_e32 v20, v21, v20, vcc_lo
	v_cmp_eq_u32_e32 vcc_lo, 0x40f, v14
	s_delay_alu instid0(VALU_DEP_2)
	v_and_b32_e32 v21, 7, v20
	s_wait_alu 0xfffd
	v_cndmask_b32_e32 v14, v17, v8, vcc_lo
	v_lshrrev_b32_e32 v17, 16, v9
	v_cmp_ne_u32_e32 vcc_lo, 0, v0
	v_mul_f64_e32 v[8:9], s[8:9], v[12:13]
	v_bfe_u32 v12, v1, 20, 11
	v_cmp_eq_u32_e64 s0, 3, v21
	v_and_or_b32 v13, 0x8000, v17, v14
	v_and_b32_e32 v14, 0xffff, v15
	s_wait_alu 0xfffd
	v_cndmask_b32_e64 v0, 0, 1, vcc_lo
	v_cmp_lt_i32_e32 vcc_lo, 5, v21
	v_sub_nc_u32_e32 v15, 0x3f1, v12
	v_and_or_b32 v10, 0x1ff, v11, v10
	v_lshl_or_b32 v13, v13, 16, v14
	v_lshrrev_b32_e32 v14, 2, v20
	v_and_or_b32 v0, 0xffe, v22, v0
	s_or_b32 vcc_lo, s0, vcc_lo
	v_med3_i32 v15, v15, 0, 13
	v_lshrrev_b32_e32 v21, 8, v11
	s_wait_alu 0xfffe
	v_add_co_ci_u32_e32 v14, vcc_lo, 0, v14, vcc_lo
	v_or_b32_e32 v17, 0x1000, v0
	v_cmp_ne_u32_e32 vcc_lo, 0, v6
	v_bfe_u32 v22, v11, 20, 11
	v_add_nc_u32_e32 v12, 0xfffffc10, v12
	v_lshrrev_b32_e32 v1, 16, v1
	v_lshrrev_b32_e32 v20, v15, v17
	s_wait_alu 0xfffd
	v_cndmask_b32_e64 v6, 0, 1, vcc_lo
	v_cmp_gt_i32_e32 vcc_lo, 31, v19
	v_lshrrev_b32_e32 v11, 16, v11
	v_lshlrev_b32_e32 v15, v15, v20
	s_delay_alu instid0(VALU_DEP_4)
	v_lshl_or_b32 v6, v6, 9, 0x7c00
	s_wait_alu 0xfffd
	v_cndmask_b32_e32 v14, 0x7c00, v14, vcc_lo
	v_cmp_ne_u32_e32 vcc_lo, 0, v10
	s_wait_alu 0xfffd
	v_cndmask_b32_e64 v10, 0, 1, vcc_lo
	v_cmp_ne_u32_e32 vcc_lo, v15, v17
	v_sub_nc_u32_e32 v17, 0x3f1, v22
	v_and_or_b32 v8, 0x1ff, v9, v8
	s_delay_alu instid0(VALU_DEP_4)
	v_and_or_b32 v10, 0xffe, v21, v10
	s_wait_alu 0xfffd
	v_cndmask_b32_e64 v15, 0, 1, vcc_lo
	v_cmp_eq_u32_e32 vcc_lo, 0x40f, v19
	v_med3_i32 v17, v17, 0, 13
	v_bfe_u32 v21, v9, 20, 11
	v_or_b32_e32 v19, 0x1000, v10
	s_wait_alu 0xfffd
	v_cndmask_b32_e32 v6, v14, v6, vcc_lo
	v_or_b32_e32 v14, v20, v15
	v_lshl_or_b32 v15, v12, 12, v0
	v_cmp_gt_i32_e32 vcc_lo, 1, v12
	v_lshrrev_b32_e32 v20, 8, v9
	s_wait_alu 0xfffd
	s_delay_alu instid0(VALU_DEP_3) | instskip(SKIP_2) | instid1(VALU_DEP_3)
	v_cndmask_b32_e32 v14, v15, v14, vcc_lo
	v_lshrrev_b32_e32 v15, v17, v19
	v_cmp_ne_u32_e32 vcc_lo, 0, v8
	v_and_b32_e32 v23, 7, v14
	s_delay_alu instid0(VALU_DEP_3)
	v_lshlrev_b32_e32 v17, v17, v15
	s_wait_alu 0xfffd
	v_cndmask_b32_e64 v8, 0, 1, vcc_lo
	v_and_or_b32 v6, 0x8000, v7, v6
	v_lshrrev_b32_e32 v14, 2, v14
	v_cmp_lt_i32_e32 vcc_lo, 5, v23
	v_cmp_ne_u32_e64 s0, v17, v19
	v_and_or_b32 v7, 0xffe, v20, v8
	v_sub_nc_u32_e32 v8, 0x3f1, v21
	v_add_nc_u32_e32 v20, 0xfffffc10, v22
	v_and_b32_e32 v6, 0xffff, v6
	s_wait_alu 0xf1ff
	v_cndmask_b32_e64 v17, 0, 1, s0
	v_cmp_eq_u32_e64 s0, 3, v23
	v_or_b32_e32 v19, 0x1000, v7
	v_med3_i32 v8, v8, 0, 13
	v_lshl_or_b32 v22, v20, 12, v10
	v_or_b32_e32 v15, v15, v17
	s_or_b32 vcc_lo, s0, vcc_lo
	s_wait_alu 0xfffe
	v_add_co_ci_u32_e32 v14, vcc_lo, 0, v14, vcc_lo
	v_lshrrev_b32_e32 v17, v8, v19
	v_cmp_gt_i32_e32 vcc_lo, 1, v20
	s_wait_alu 0xfffd
	s_delay_alu instid0(VALU_DEP_2) | instskip(SKIP_3) | instid1(VALU_DEP_3)
	v_dual_cndmask_b32 v15, v22, v15 :: v_dual_lshlrev_b32 v8, v8, v17
	v_cmp_ne_u32_e32 vcc_lo, 0, v0
	s_wait_alu 0xfffd
	v_cndmask_b32_e64 v0, 0, 1, vcc_lo
	v_cmp_ne_u32_e32 vcc_lo, v8, v19
	v_add_nc_u32_e32 v19, 0xfffffc10, v21
	v_and_b32_e32 v21, 7, v15
	s_delay_alu instid0(VALU_DEP_4)
	v_lshl_or_b32 v0, v0, 9, 0x7c00
	s_wait_alu 0xfffd
	v_cndmask_b32_e64 v8, 0, 1, vcc_lo
	v_cmp_gt_i32_e32 vcc_lo, 31, v12
	v_cmp_gt_i32_e64 s1, 1, v19
	v_cmp_eq_u32_e64 s0, 3, v21
	s_delay_alu instid0(VALU_DEP_4)
	v_or_b32_e32 v8, v17, v8
	v_lshl_or_b32 v17, v19, 12, v7
	s_wait_alu 0xfffd
	v_cndmask_b32_e32 v14, 0x7c00, v14, vcc_lo
	v_cmp_lt_i32_e32 vcc_lo, 5, v21
	s_wait_alu 0xf1ff
	v_cndmask_b32_e64 v8, v17, v8, s1
	v_cmp_eq_u32_e64 s1, 0x40f, v12
	v_lshrrev_b32_e32 v12, 2, v15
	s_or_b32 vcc_lo, s0, vcc_lo
	s_delay_alu instid0(VALU_DEP_2) | instskip(SKIP_1) | instid1(VALU_DEP_2)
	v_cndmask_b32_e64 v0, v14, v0, s1
	s_wait_alu 0xfffe
	v_add_co_ci_u32_e32 v12, vcc_lo, 0, v12, vcc_lo
	v_and_b32_e32 v14, 7, v8
	v_cmp_ne_u32_e32 vcc_lo, 0, v10
	v_lshrrev_b32_e32 v8, 2, v8
	v_cmp_gt_i32_e64 s1, 31, v20
	s_delay_alu instid0(VALU_DEP_4)
	v_cmp_eq_u32_e64 s0, 3, v14
	s_wait_alu 0xfffd
	v_cndmask_b32_e64 v10, 0, 1, vcc_lo
	v_cmp_lt_i32_e32 vcc_lo, 5, v14
	s_wait_alu 0xf1ff
	v_cndmask_b32_e64 v12, 0x7c00, v12, s1
	s_delay_alu instid0(VALU_DEP_3)
	v_lshl_or_b32 v10, v10, 9, 0x7c00
	s_or_b32 vcc_lo, s0, vcc_lo
	s_wait_alu 0xfffe
	v_add_co_ci_u32_e32 v8, vcc_lo, 0, v8, vcc_lo
	v_cmp_ne_u32_e32 vcc_lo, 0, v7
	s_wait_alu 0xfffd
	v_cndmask_b32_e64 v7, 0, 1, vcc_lo
	v_cmp_eq_u32_e32 vcc_lo, 0x40f, v20
	s_delay_alu instid0(VALU_DEP_2) | instskip(SKIP_4) | instid1(VALU_DEP_3)
	v_lshl_or_b32 v7, v7, 9, 0x7c00
	s_wait_alu 0xfffd
	v_cndmask_b32_e32 v10, v12, v10, vcc_lo
	v_cmp_gt_i32_e32 vcc_lo, 31, v19
	v_and_or_b32 v12, 0x8000, v1, v0
	v_and_or_b32 v10, 0x8000, v11, v10
	s_wait_alu 0xfffd
	v_cndmask_b32_e32 v8, 0x7c00, v8, vcc_lo
	v_cmp_eq_u32_e32 vcc_lo, 0x40f, v19
	v_lshl_or_b32 v11, v12, 16, v6
	s_wait_alu 0xfffd
	s_delay_alu instid0(VALU_DEP_3) | instskip(SKIP_4) | instid1(VALU_DEP_3)
	v_cndmask_b32_e32 v7, v8, v7, vcc_lo
	v_lshrrev_b32_e32 v8, 16, v9
	v_add_co_u32 v0, vcc_lo, v4, s2
	s_wait_alu 0xfffd
	v_add_co_ci_u32_e32 v1, vcc_lo, s3, v5, vcc_lo
	v_and_or_b32 v8, 0x8000, v8, v7
	v_and_b32_e32 v9, 0xffff, v10
	v_add_co_u32 v6, vcc_lo, v0, s2
	s_wait_alu 0xfffd
	v_add_co_ci_u32_e32 v7, vcc_lo, s3, v1, vcc_lo
	s_delay_alu instid0(VALU_DEP_3) | instskip(NEXT) | instid1(VALU_DEP_3)
	v_lshl_or_b32 v10, v8, 16, v9
	v_add_co_u32 v8, vcc_lo, v6, s2
	s_wait_alu 0xfffd
	s_delay_alu instid0(VALU_DEP_3)
	v_add_co_ci_u32_e32 v9, vcc_lo, s3, v7, vcc_lo
	global_store_b32 v[2:3], v16, off
	global_store_b32 v[4:5], v18, off
	;; [unrolled: 1-line block ×5, first 2 shown]
.LBB0_10:
	s_nop 0
	s_sendmsg sendmsg(MSG_DEALLOC_VGPRS)
	s_endpgm
	.section	.rodata,"a",@progbits
	.p2align	6, 0x0
	.amdhsa_kernel bluestein_single_fwd_len676_dim1_half_op_CI_CI
		.amdhsa_group_segment_fixed_size 2704
		.amdhsa_private_segment_fixed_size 0
		.amdhsa_kernarg_size 104
		.amdhsa_user_sgpr_count 2
		.amdhsa_user_sgpr_dispatch_ptr 0
		.amdhsa_user_sgpr_queue_ptr 0
		.amdhsa_user_sgpr_kernarg_segment_ptr 1
		.amdhsa_user_sgpr_dispatch_id 0
		.amdhsa_user_sgpr_private_segment_size 0
		.amdhsa_wavefront_size32 1
		.amdhsa_uses_dynamic_stack 0
		.amdhsa_enable_private_segment 0
		.amdhsa_system_sgpr_workgroup_id_x 1
		.amdhsa_system_sgpr_workgroup_id_y 0
		.amdhsa_system_sgpr_workgroup_id_z 0
		.amdhsa_system_sgpr_workgroup_info 0
		.amdhsa_system_vgpr_workitem_id 0
		.amdhsa_next_free_vgpr 228
		.amdhsa_next_free_sgpr 20
		.amdhsa_reserve_vcc 1
		.amdhsa_float_round_mode_32 0
		.amdhsa_float_round_mode_16_64 0
		.amdhsa_float_denorm_mode_32 3
		.amdhsa_float_denorm_mode_16_64 3
		.amdhsa_fp16_overflow 0
		.amdhsa_workgroup_processor_mode 1
		.amdhsa_memory_ordered 1
		.amdhsa_forward_progress 0
		.amdhsa_round_robin_scheduling 0
		.amdhsa_exception_fp_ieee_invalid_op 0
		.amdhsa_exception_fp_denorm_src 0
		.amdhsa_exception_fp_ieee_div_zero 0
		.amdhsa_exception_fp_ieee_overflow 0
		.amdhsa_exception_fp_ieee_underflow 0
		.amdhsa_exception_fp_ieee_inexact 0
		.amdhsa_exception_int_div_zero 0
	.end_amdhsa_kernel
	.text
.Lfunc_end0:
	.size	bluestein_single_fwd_len676_dim1_half_op_CI_CI, .Lfunc_end0-bluestein_single_fwd_len676_dim1_half_op_CI_CI
                                        ; -- End function
	.section	.AMDGPU.csdata,"",@progbits
; Kernel info:
; codeLenInByte = 27172
; NumSgprs: 22
; NumVgprs: 228
; ScratchSize: 0
; MemoryBound: 0
; FloatMode: 240
; IeeeMode: 1
; LDSByteSize: 2704 bytes/workgroup (compile time only)
; SGPRBlocks: 2
; VGPRBlocks: 28
; NumSGPRsForWavesPerEU: 22
; NumVGPRsForWavesPerEU: 228
; Occupancy: 6
; WaveLimiterHint : 1
; COMPUTE_PGM_RSRC2:SCRATCH_EN: 0
; COMPUTE_PGM_RSRC2:USER_SGPR: 2
; COMPUTE_PGM_RSRC2:TRAP_HANDLER: 0
; COMPUTE_PGM_RSRC2:TGID_X_EN: 1
; COMPUTE_PGM_RSRC2:TGID_Y_EN: 0
; COMPUTE_PGM_RSRC2:TGID_Z_EN: 0
; COMPUTE_PGM_RSRC2:TIDIG_COMP_CNT: 0
	.text
	.p2alignl 7, 3214868480
	.fill 96, 4, 3214868480
	.type	__hip_cuid_ba3d54113a6686c3,@object ; @__hip_cuid_ba3d54113a6686c3
	.section	.bss,"aw",@nobits
	.globl	__hip_cuid_ba3d54113a6686c3
__hip_cuid_ba3d54113a6686c3:
	.byte	0                               ; 0x0
	.size	__hip_cuid_ba3d54113a6686c3, 1

	.ident	"AMD clang version 19.0.0git (https://github.com/RadeonOpenCompute/llvm-project roc-6.4.0 25133 c7fe45cf4b819c5991fe208aaa96edf142730f1d)"
	.section	".note.GNU-stack","",@progbits
	.addrsig
	.addrsig_sym __hip_cuid_ba3d54113a6686c3
	.amdgpu_metadata
---
amdhsa.kernels:
  - .args:
      - .actual_access:  read_only
        .address_space:  global
        .offset:         0
        .size:           8
        .value_kind:     global_buffer
      - .actual_access:  read_only
        .address_space:  global
        .offset:         8
        .size:           8
        .value_kind:     global_buffer
      - .actual_access:  read_only
        .address_space:  global
        .offset:         16
        .size:           8
        .value_kind:     global_buffer
      - .actual_access:  read_only
        .address_space:  global
        .offset:         24
        .size:           8
        .value_kind:     global_buffer
      - .actual_access:  read_only
        .address_space:  global
        .offset:         32
        .size:           8
        .value_kind:     global_buffer
      - .offset:         40
        .size:           8
        .value_kind:     by_value
      - .address_space:  global
        .offset:         48
        .size:           8
        .value_kind:     global_buffer
      - .address_space:  global
        .offset:         56
        .size:           8
        .value_kind:     global_buffer
      - .address_space:  global
        .offset:         64
        .size:           8
        .value_kind:     global_buffer
      - .address_space:  global
        .offset:         72
        .size:           8
        .value_kind:     global_buffer
      - .offset:         80
        .size:           4
        .value_kind:     by_value
      - .address_space:  global
        .offset:         88
        .size:           8
        .value_kind:     global_buffer
      - .address_space:  global
        .offset:         96
        .size:           8
        .value_kind:     global_buffer
    .group_segment_fixed_size: 2704
    .kernarg_segment_align: 8
    .kernarg_segment_size: 104
    .language:       OpenCL C
    .language_version:
      - 2
      - 0
    .max_flat_workgroup_size: 52
    .name:           bluestein_single_fwd_len676_dim1_half_op_CI_CI
    .private_segment_fixed_size: 0
    .sgpr_count:     22
    .sgpr_spill_count: 0
    .symbol:         bluestein_single_fwd_len676_dim1_half_op_CI_CI.kd
    .uniform_work_group_size: 1
    .uses_dynamic_stack: false
    .vgpr_count:     228
    .vgpr_spill_count: 0
    .wavefront_size: 32
    .workgroup_processor_mode: 1
amdhsa.target:   amdgcn-amd-amdhsa--gfx1201
amdhsa.version:
  - 1
  - 2
...

	.end_amdgpu_metadata
